;; amdgpu-corpus repo=ROCm/rocFFT kind=compiled arch=gfx950 opt=O3
	.text
	.amdgcn_target "amdgcn-amd-amdhsa--gfx950"
	.amdhsa_code_object_version 6
	.protected	fft_rtc_back_len1014_factors_13_6_13_wgs_156_tpt_78_sp_ip_CI_unitstride_sbrr_dirReg ; -- Begin function fft_rtc_back_len1014_factors_13_6_13_wgs_156_tpt_78_sp_ip_CI_unitstride_sbrr_dirReg
	.globl	fft_rtc_back_len1014_factors_13_6_13_wgs_156_tpt_78_sp_ip_CI_unitstride_sbrr_dirReg
	.p2align	8
	.type	fft_rtc_back_len1014_factors_13_6_13_wgs_156_tpt_78_sp_ip_CI_unitstride_sbrr_dirReg,@function
fft_rtc_back_len1014_factors_13_6_13_wgs_156_tpt_78_sp_ip_CI_unitstride_sbrr_dirReg: ; @fft_rtc_back_len1014_factors_13_6_13_wgs_156_tpt_78_sp_ip_CI_unitstride_sbrr_dirReg
; %bb.0:
	s_load_dwordx2 s[8:9], s[0:1], 0x50
	s_load_dwordx4 s[4:7], s[0:1], 0x0
	s_load_dwordx2 s[10:11], s[0:1], 0x18
	v_mul_u32_u24_e32 v1, 0x349, v0
	v_lshrrev_b32_e32 v22, 16, v1
	v_lshl_add_u32 v6, s2, 1, v22
	v_mov_b32_e32 v4, 0
	s_waitcnt lgkmcnt(0)
	v_cmp_lt_u64_e64 s[2:3], s[6:7], 2
	v_mov_b32_e32 v7, v4
	s_and_b64 vcc, exec, s[2:3]
	v_mov_b64_e32 v[2:3], 0
	s_cbranch_vccnz .LBB0_8
; %bb.1:
	s_load_dwordx2 s[2:3], s[0:1], 0x10
	s_add_u32 s12, s10, 8
	s_addc_u32 s13, s11, 0
	s_mov_b64 s[14:15], 1
	v_mov_b64_e32 v[2:3], 0
	s_waitcnt lgkmcnt(0)
	s_add_u32 s16, s2, 8
	s_addc_u32 s17, s3, 0
.LBB0_2:                                ; =>This Inner Loop Header: Depth=1
	s_load_dwordx2 s[18:19], s[16:17], 0x0
                                        ; implicit-def: $vgpr8_vgpr9
	s_waitcnt lgkmcnt(0)
	v_or_b32_e32 v5, s19, v7
	v_cmp_ne_u64_e32 vcc, 0, v[4:5]
	s_and_saveexec_b64 s[2:3], vcc
	s_xor_b64 s[20:21], exec, s[2:3]
	s_cbranch_execz .LBB0_4
; %bb.3:                                ;   in Loop: Header=BB0_2 Depth=1
	v_cvt_f32_u32_e32 v1, s18
	v_cvt_f32_u32_e32 v5, s19
	s_sub_u32 s2, 0, s18
	s_subb_u32 s3, 0, s19
	v_fmac_f32_e32 v1, 0x4f800000, v5
	v_rcp_f32_e32 v1, v1
	s_nop 0
	v_mul_f32_e32 v1, 0x5f7ffffc, v1
	v_mul_f32_e32 v5, 0x2f800000, v1
	v_trunc_f32_e32 v5, v5
	v_fmac_f32_e32 v1, 0xcf800000, v5
	v_cvt_u32_f32_e32 v5, v5
	v_cvt_u32_f32_e32 v1, v1
	v_mul_lo_u32 v8, s2, v5
	v_mul_hi_u32 v10, s2, v1
	v_mul_lo_u32 v9, s3, v1
	v_add_u32_e32 v10, v10, v8
	v_mul_lo_u32 v12, s2, v1
	v_add_u32_e32 v13, v10, v9
	v_mul_hi_u32 v8, v1, v12
	v_mul_hi_u32 v11, v1, v13
	v_mul_lo_u32 v10, v1, v13
	v_mov_b32_e32 v9, v4
	v_lshl_add_u64 v[8:9], v[8:9], 0, v[10:11]
	v_mul_hi_u32 v11, v5, v12
	v_mul_lo_u32 v12, v5, v12
	v_add_co_u32_e32 v8, vcc, v8, v12
	v_mul_hi_u32 v10, v5, v13
	s_nop 0
	v_addc_co_u32_e32 v8, vcc, v9, v11, vcc
	v_mov_b32_e32 v9, v4
	s_nop 0
	v_addc_co_u32_e32 v11, vcc, 0, v10, vcc
	v_mul_lo_u32 v10, v5, v13
	v_lshl_add_u64 v[8:9], v[8:9], 0, v[10:11]
	v_add_co_u32_e32 v1, vcc, v1, v8
	v_mul_lo_u32 v10, s2, v1
	s_nop 0
	v_addc_co_u32_e32 v5, vcc, v5, v9, vcc
	v_mul_lo_u32 v8, s2, v5
	v_mul_hi_u32 v9, s2, v1
	v_add_u32_e32 v8, v9, v8
	v_mul_lo_u32 v9, s3, v1
	v_add_u32_e32 v12, v8, v9
	v_mul_hi_u32 v14, v5, v10
	v_mul_lo_u32 v15, v5, v10
	v_mul_hi_u32 v9, v1, v12
	v_mul_lo_u32 v8, v1, v12
	v_mul_hi_u32 v10, v1, v10
	v_mov_b32_e32 v11, v4
	v_lshl_add_u64 v[8:9], v[10:11], 0, v[8:9]
	v_add_co_u32_e32 v8, vcc, v8, v15
	v_mul_hi_u32 v13, v5, v12
	s_nop 0
	v_addc_co_u32_e32 v8, vcc, v9, v14, vcc
	v_mul_lo_u32 v10, v5, v12
	s_nop 0
	v_addc_co_u32_e32 v11, vcc, 0, v13, vcc
	v_mov_b32_e32 v9, v4
	v_lshl_add_u64 v[8:9], v[8:9], 0, v[10:11]
	v_add_co_u32_e32 v1, vcc, v1, v8
	v_mul_hi_u32 v10, v6, v1
	s_nop 0
	v_addc_co_u32_e32 v5, vcc, v5, v9, vcc
	v_mad_u64_u32 v[8:9], s[2:3], v6, v5, 0
	v_mov_b32_e32 v11, v4
	v_lshl_add_u64 v[8:9], v[10:11], 0, v[8:9]
	v_mad_u64_u32 v[12:13], s[2:3], v7, v1, 0
	v_add_co_u32_e32 v1, vcc, v8, v12
	v_mad_u64_u32 v[10:11], s[2:3], v7, v5, 0
	s_nop 0
	v_addc_co_u32_e32 v8, vcc, v9, v13, vcc
	v_mov_b32_e32 v9, v4
	s_nop 0
	v_addc_co_u32_e32 v11, vcc, 0, v11, vcc
	v_lshl_add_u64 v[8:9], v[8:9], 0, v[10:11]
	v_mul_lo_u32 v1, s19, v8
	v_mul_lo_u32 v5, s18, v9
	v_mad_u64_u32 v[10:11], s[2:3], s18, v8, 0
	v_add3_u32 v1, v11, v5, v1
	v_sub_u32_e32 v5, v7, v1
	v_mov_b32_e32 v11, s19
	v_sub_co_u32_e32 v14, vcc, v6, v10
	v_lshl_add_u64 v[12:13], v[8:9], 0, 1
	s_nop 0
	v_subb_co_u32_e64 v5, s[2:3], v5, v11, vcc
	v_subrev_co_u32_e64 v10, s[2:3], s18, v14
	v_subb_co_u32_e32 v1, vcc, v7, v1, vcc
	s_nop 0
	v_subbrev_co_u32_e64 v5, s[2:3], 0, v5, s[2:3]
	v_cmp_le_u32_e64 s[2:3], s19, v5
	v_cmp_le_u32_e32 vcc, s19, v1
	s_nop 0
	v_cndmask_b32_e64 v11, 0, -1, s[2:3]
	v_cmp_le_u32_e64 s[2:3], s18, v10
	s_nop 1
	v_cndmask_b32_e64 v10, 0, -1, s[2:3]
	v_cmp_eq_u32_e64 s[2:3], s19, v5
	s_nop 1
	v_cndmask_b32_e64 v5, v11, v10, s[2:3]
	v_lshl_add_u64 v[10:11], v[8:9], 0, 2
	v_cmp_ne_u32_e64 s[2:3], 0, v5
	s_nop 1
	v_cndmask_b32_e64 v5, v13, v11, s[2:3]
	v_cndmask_b32_e64 v11, 0, -1, vcc
	v_cmp_le_u32_e32 vcc, s18, v14
	s_nop 1
	v_cndmask_b32_e64 v13, 0, -1, vcc
	v_cmp_eq_u32_e32 vcc, s19, v1
	s_nop 1
	v_cndmask_b32_e32 v1, v11, v13, vcc
	v_cmp_ne_u32_e32 vcc, 0, v1
	v_cndmask_b32_e64 v1, v12, v10, s[2:3]
	s_nop 0
	v_cndmask_b32_e32 v9, v9, v5, vcc
	v_cndmask_b32_e32 v8, v8, v1, vcc
.LBB0_4:                                ;   in Loop: Header=BB0_2 Depth=1
	s_andn2_saveexec_b64 s[2:3], s[20:21]
	s_cbranch_execz .LBB0_6
; %bb.5:                                ;   in Loop: Header=BB0_2 Depth=1
	v_cvt_f32_u32_e32 v1, s18
	s_sub_i32 s20, 0, s18
	v_rcp_iflag_f32_e32 v1, v1
	s_nop 0
	v_mul_f32_e32 v1, 0x4f7ffffe, v1
	v_cvt_u32_f32_e32 v1, v1
	v_mul_lo_u32 v5, s20, v1
	v_mul_hi_u32 v5, v1, v5
	v_add_u32_e32 v1, v1, v5
	v_mul_hi_u32 v1, v6, v1
	v_mul_lo_u32 v5, v1, s18
	v_sub_u32_e32 v5, v6, v5
	v_add_u32_e32 v8, 1, v1
	v_subrev_u32_e32 v9, s18, v5
	v_cmp_le_u32_e32 vcc, s18, v5
	s_nop 1
	v_cndmask_b32_e32 v5, v5, v9, vcc
	v_cndmask_b32_e32 v1, v1, v8, vcc
	v_add_u32_e32 v8, 1, v1
	v_cmp_le_u32_e32 vcc, s18, v5
	v_mov_b32_e32 v9, v4
	s_nop 0
	v_cndmask_b32_e32 v8, v1, v8, vcc
.LBB0_6:                                ;   in Loop: Header=BB0_2 Depth=1
	s_or_b64 exec, exec, s[2:3]
	v_mad_u64_u32 v[10:11], s[2:3], v8, s18, 0
	s_load_dwordx2 s[2:3], s[12:13], 0x0
	v_mul_lo_u32 v1, v9, s18
	v_mul_lo_u32 v5, v8, s19
	v_add3_u32 v1, v11, v5, v1
	v_sub_co_u32_e32 v5, vcc, v6, v10
	s_add_u32 s14, s14, 1
	s_nop 0
	v_subb_co_u32_e32 v1, vcc, v7, v1, vcc
	s_addc_u32 s15, s15, 0
	s_waitcnt lgkmcnt(0)
	v_mul_lo_u32 v1, s2, v1
	v_mul_lo_u32 v6, s3, v5
	v_mad_u64_u32 v[2:3], s[2:3], s2, v5, v[2:3]
	s_add_u32 s12, s12, 8
	v_add3_u32 v3, v6, v3, v1
	s_addc_u32 s13, s13, 0
	v_mov_b64_e32 v[6:7], s[6:7]
	s_add_u32 s16, s16, 8
	v_cmp_ge_u64_e32 vcc, s[14:15], v[6:7]
	s_addc_u32 s17, s17, 0
	s_cbranch_vccnz .LBB0_9
; %bb.7:                                ;   in Loop: Header=BB0_2 Depth=1
	v_mov_b64_e32 v[6:7], v[8:9]
	s_branch .LBB0_2
.LBB0_8:
	v_mov_b64_e32 v[8:9], v[6:7]
.LBB0_9:
	s_lshl_b64 s[2:3], s[6:7], 3
	s_add_u32 s2, s10, s2
	s_addc_u32 s3, s11, s3
	s_load_dwordx2 s[6:7], s[2:3], 0x0
	s_load_dwordx2 s[10:11], s[0:1], 0x20
	s_mov_b32 s2, 0x3483484
	v_mov_b64_e32 v[36:37], 0
                                        ; implicit-def: $vgpr14
                                        ; implicit-def: $vgpr18
                                        ; implicit-def: $vgpr16
                                        ; implicit-def: $vgpr20
                                        ; implicit-def: $vgpr10
                                        ; implicit-def: $vgpr24
                                        ; implicit-def: $vgpr28
                                        ; implicit-def: $vgpr42
                                        ; implicit-def: $vgpr50
                                        ; implicit-def: $vgpr12
                                        ; implicit-def: $vgpr52
	s_waitcnt lgkmcnt(0)
	v_mul_lo_u32 v1, s6, v9
	v_mul_lo_u32 v6, s7, v8
	v_mad_u64_u32 v[4:5], s[0:1], s6, v8, v[2:3]
	v_add3_u32 v5, v6, v5, v1
	v_mul_hi_u32 v1, v0, s2
	v_mul_u32_u24_e32 v1, 0x4e, v1
	v_mov_b32_e32 v2, 0
	v_cmp_gt_u64_e64 s[0:1], s[10:11], v[8:9]
	v_sub_u32_e32 v34, v0, v1
	v_lshl_add_u64 v[32:33], v[4:5], 3, s[8:9]
	v_mov_b32_e32 v3, v2
                                        ; implicit-def: $vgpr0
	s_and_saveexec_b64 s[2:3], s[0:1]
	s_cbranch_execz .LBB0_11
; %bb.10:
	v_mov_b32_e32 v35, 0
	v_lshl_add_u64 v[4:5], v[34:35], 3, v[32:33]
	v_add_co_u32_e32 v6, vcc, 0x1000, v4
	global_load_dwordx2 v[2:3], v[4:5], off
	global_load_dwordx2 v[0:1], v[4:5], off offset:624
	global_load_dwordx2 v[52:53], v[4:5], off offset:1248
	;; [unrolled: 1-line block ×3, first 2 shown]
	v_addc_co_u32_e32 v7, vcc, 0, v5, vcc
	global_load_dwordx2 v[10:11], v[4:5], off offset:2496
	global_load_dwordx2 v[16:17], v[4:5], off offset:3120
	;; [unrolled: 1-line block ×9, first 2 shown]
	v_mov_b64_e32 v[36:37], v[34:35]
.LBB0_11:
	s_or_b64 exec, exec, s[2:3]
	v_and_b32_e32 v4, 1, v22
	v_mov_b32_e32 v5, 0x3f6
	v_cmp_eq_u32_e32 vcc, 1, v4
	s_waitcnt vmcnt(11)
	v_pk_add_f32 v[58:59], v[0:1], v[2:3]
	s_waitcnt vmcnt(1)
	v_pk_add_f32 v[56:57], v[52:53], v[42:43] neg_lo:[0,1] neg_hi:[0,1]
	v_cndmask_b32_e32 v35, 0, v5, vcc
	v_pk_add_f32 v[4:5], v[52:53], v[42:43]
	v_pk_add_f32 v[52:53], v[52:53], v[58:59]
	;; [unrolled: 1-line block ×4, first 2 shown]
	v_pk_add_f32 v[40:41], v[16:17], v[20:21] neg_lo:[0,1] neg_hi:[0,1]
	v_pk_add_f32 v[52:53], v[10:11], v[52:53]
	v_pk_add_f32 v[22:23], v[14:15], v[18:19]
	;; [unrolled: 1-line block ×3, first 2 shown]
	v_pk_add_f32 v[26:27], v[14:15], v[18:19] neg_lo:[0,1] neg_hi:[0,1]
	v_pk_add_f32 v[14:15], v[14:15], v[16:17]
	s_mov_b32 s22, 0xbf29c268
	v_pk_add_f32 v[18:19], v[18:19], v[14:15]
	v_pk_add_f32 v[38:39], v[10:11], v[24:25]
	;; [unrolled: 1-line block ×3, first 2 shown]
	v_pk_add_f32 v[46:47], v[10:11], v[24:25] neg_lo:[0,1] neg_hi:[0,1]
	s_mov_b32 s14, 0xbf3f9e67
	v_pk_mul_f32 v[20:21], v[40:41], s[22:23] op_sel_hi:[1,0]
	v_pk_add_f32 v[24:25], v[24:25], v[18:19]
	s_waitcnt vmcnt(0)
	v_pk_add_f32 v[6:7], v[0:1], v[28:29]
	v_pk_add_f32 v[54:55], v[0:1], v[28:29] neg_lo:[0,1] neg_hi:[0,1]
	v_pk_fma_f32 v[18:19], v[30:31], s[14:15], v[20:21] op_sel:[0,0,1] op_sel_hi:[1,0,0] neg_lo:[0,0,1] neg_hi:[0,0,1]
	v_pk_fma_f32 v[62:63], v[30:31], s[14:15], v[20:21] op_sel:[0,0,1] op_sel_hi:[1,0,0]
	v_pk_add_f32 v[20:21], v[50:51], v[24:25]
	v_mov_b32_e32 v72, v55
	v_pk_add_f32 v[20:21], v[42:43], v[20:21]
	v_mov_b32_e32 v73, v7
	s_mov_b32 s21, 0x3f62ad3f
	s_mov_b32 s20, 0xbeedf032
	;; [unrolled: 1-line block ×3, first 2 shown]
	v_pk_add_f32 v[28:29], v[28:29], v[20:21]
	v_pk_mul_f32 v[20:21], v[72:73], s[20:21]
	v_mov_b32_e32 v7, v54
	s_mov_b32 s10, s21
	s_mov_b32 s11, s20
	v_pk_add_f32 v[48:49], v[12:13], v[50:51] neg_lo:[0,1] neg_hi:[0,1]
	s_mov_b32 s2, 0x3f116cb1
	v_pk_mul_f32 v[0:1], v[56:57], s[18:19] op_sel:[1,0] op_sel_hi:[0,0]
	s_mov_b32 s26, 0xbf7e222b
	v_pk_fma_f32 v[24:25], v[6:7], s[10:11], v[20:21]
	v_pk_fma_f32 v[42:43], v[6:7], s[10:11], v[20:21] neg_lo:[1,0,0] neg_hi:[1,0,0]
	v_pk_add_f32 v[44:45], v[12:13], v[50:51]
	v_pk_fma_f32 v[8:9], v[4:5], s[2:3], v[0:1] op_sel_hi:[1,0,1] neg_lo:[0,0,1] neg_hi:[0,0,1]
	v_pk_fma_f32 v[60:61], v[4:5], s[2:3], v[0:1] op_sel_hi:[1,0,1]
	s_mov_b32 s6, 0x3df6dbef
	v_pk_mul_f32 v[58:59], v[48:49], s[26:27] op_sel_hi:[1,0]
	s_mov_b32 s16, 0xbf6f5d39
	v_mov_b32_e32 v42, v24
	v_mov_b32_e32 v1, v61
	v_pk_fma_f32 v[12:13], v[44:45], s[6:7], v[58:59] op_sel:[0,0,1] op_sel_hi:[1,0,0] neg_lo:[0,0,1] neg_hi:[0,0,1]
	v_pk_fma_f32 v[58:59], v[44:45], s[6:7], v[58:59] op_sel:[0,0,1] op_sel_hi:[1,0,0]
	s_mov_b32 s8, 0xbeb58ec6
	v_pk_mul_f32 v[52:53], v[46:47], s[16:17] op_sel_hi:[1,0]
	v_pk_add_f32 v[42:43], v[42:43], v[2:3]
	v_mov_b32_e32 v61, v9
	v_mov_b32_e32 v11, v59
	v_pk_fma_f32 v[16:17], v[38:39], s[8:9], v[52:53] op_sel:[0,0,1] op_sel_hi:[1,0,0] neg_lo:[0,0,1] neg_hi:[0,0,1]
	v_pk_fma_f32 v[52:53], v[38:39], s[8:9], v[52:53] op_sel:[0,0,1] op_sel_hi:[1,0,0]
	v_pk_add_f32 v[42:43], v[60:61], v[42:43]
	s_mov_b32 s24, 0xbe750f2a
	v_mov_b32_e32 v59, v13
	v_mov_b32_e32 v15, v53
	s_mov_b32 s12, 0xbf788fa5
	v_pk_add_f32 v[42:43], v[58:59], v[42:43]
	v_pk_mul_f32 v[50:51], v[26:27], s[24:25] op_sel_hi:[1,0]
	v_mov_b32_e32 v53, v17
	v_mov_b32_e32 v9, v63
	v_pk_add_f32 v[52:53], v[52:53], v[42:43]
	v_pk_fma_f32 v[42:43], v[22:23], s[12:13], v[50:51] op_sel:[0,0,1] op_sel_hi:[1,0,0] neg_lo:[0,0,1] neg_hi:[0,0,1]
	v_pk_fma_f32 v[50:51], v[22:23], s[12:13], v[50:51] op_sel:[0,0,1] op_sel_hi:[1,0,0]
	v_mov_b32_e32 v63, v19
	v_pk_add_f32 v[52:53], v[62:63], v[52:53]
	v_mov_b32_e32 v13, v51
	v_lshl_add_u32 v19, v35, 3, 0
	s_movk_i32 s3, 0x68
	v_mov_b32_e32 v51, v43
	v_pk_add_f32 v[50:51], v[50:51], v[52:53]
	v_mad_u32_u24 v24, v34, s3, v19
	s_mov_b32 s19, s2
	ds_write2_b64 v24, v[28:29], v[50:51] offset1:1
	v_pk_mul_f32 v[28:29], v[72:73], s[18:19]
	s_mov_b32 s3, s18
	v_mov_b32_e32 v98, v57
	v_mov_b32_e32 v99, v5
	s_mov_b32 s17, s8
	v_mov_b32_e32 v5, v56
	v_pk_fma_f32 v[50:51], v[6:7], s[2:3], v[28:29]
	v_pk_fma_f32 v[56:57], v[6:7], s[2:3], v[28:29] neg_lo:[1,0,0] neg_hi:[1,0,0]
	s_mov_b32 s9, s16
	v_pk_mul_f32 v[54:55], v[98:99], s[16:17]
	v_mov_b32_e32 v56, v50
	v_pk_fma_f32 v[52:53], v[4:5], s[8:9], v[54:55]
	v_pk_fma_f32 v[58:59], v[4:5], s[8:9], v[54:55] neg_lo:[1,0,0] neg_hi:[1,0,0]
	v_pk_add_f32 v[56:57], v[56:57], v[2:3]
	v_mov_b32_e32 v58, v52
	v_pk_add_f32 v[60:61], v[58:59], v[56:57]
	v_pk_mul_f32 v[56:57], v[48:49], s[24:25] op_sel_hi:[1,0]
	s_mov_b32 s34, 0x3f29c268
	v_pk_fma_f32 v[58:59], v[44:45], s[12:13], v[56:57] op_sel:[0,0,1] op_sel_hi:[1,0,0]
	v_pk_fma_f32 v[56:57], v[44:45], s[12:13], v[56:57] op_sel:[0,0,1] op_sel_hi:[1,0,0] neg_lo:[0,0,1] neg_hi:[0,0,1]
	v_mov_b32_e32 v62, v58
	v_mov_b32_e32 v63, v57
	v_pk_add_f32 v[64:65], v[62:63], v[60:61]
	v_pk_mul_f32 v[60:61], v[46:47], s[34:35] op_sel_hi:[1,0]
	s_mov_b32 s28, 0x3f7e222b
	v_pk_fma_f32 v[62:63], v[38:39], s[14:15], v[60:61] op_sel:[0,0,1] op_sel_hi:[1,0,0]
	v_pk_fma_f32 v[60:61], v[38:39], s[14:15], v[60:61] op_sel:[0,0,1] op_sel_hi:[1,0,0] neg_lo:[0,0,1] neg_hi:[0,0,1]
	v_mov_b32_e32 v66, v62
	;; [unrolled: 7-line block ×3, first 2 shown]
	v_mov_b32_e32 v71, v65
	v_pk_add_f32 v[74:75], v[70:71], v[68:69]
	s_mov_b32 s30, s21
	v_pk_mul_f32 v[70:71], v[26:27], s[20:21] op_sel_hi:[1,0]
	s_mov_b32 s27, s6
	v_pk_fma_f32 v[68:69], v[22:23], s[30:31], v[70:71] op_sel:[0,0,1] op_sel_hi:[1,0,0]
	v_pk_fma_f32 v[70:71], v[22:23], s[30:31], v[70:71] op_sel:[0,0,1] op_sel_hi:[1,0,0] neg_lo:[0,0,1] neg_hi:[0,0,1]
	v_mov_b32_e32 v76, v68
	v_mov_b32_e32 v77, v71
	v_pk_add_f32 v[100:101], v[76:77], v[74:75]
	s_mov_b32 s7, s26
	v_pk_mul_f32 v[76:77], v[72:73], s[26:27]
	s_mov_b32 s25, s12
	v_pk_fma_f32 v[74:75], v[6:7], s[6:7], v[76:77]
	v_pk_fma_f32 v[82:83], v[6:7], s[6:7], v[76:77] neg_lo:[1,0,0] neg_hi:[1,0,0]
	s_mov_b32 s13, s24
	v_pk_mul_f32 v[80:81], v[98:99], s[24:25]
	v_mov_b32_e32 v82, v74
	v_pk_fma_f32 v[78:79], v[4:5], s[12:13], v[80:81]
	v_pk_fma_f32 v[84:85], v[4:5], s[12:13], v[80:81] neg_lo:[1,0,0] neg_hi:[1,0,0]
	v_pk_add_f32 v[82:83], v[82:83], v[2:3]
	v_mov_b32_e32 v84, v78
	s_mov_b32 s36, 0x3f6f5d39
	v_pk_add_f32 v[84:85], v[84:85], v[82:83]
	v_pk_mul_f32 v[82:83], v[48:49], s[36:37] op_sel_hi:[1,0]
	s_mov_b32 s35, s14
	v_pk_fma_f32 v[86:87], v[44:45], s[8:9], v[82:83] op_sel:[0,0,1] op_sel_hi:[1,0,0]
	v_pk_fma_f32 v[82:83], v[44:45], s[8:9], v[82:83] op_sel:[0,0,1] op_sel_hi:[1,0,0] neg_lo:[0,0,1] neg_hi:[0,0,1]
	v_mov_b32_e32 v88, v86
	v_mov_b32_e32 v89, v83
	v_pk_add_f32 v[90:91], v[88:89], v[84:85]
	v_pk_mul_f32 v[84:85], v[46:47], s[20:21] op_sel_hi:[1,0]
	v_pk_mul_f32 v[106:107], v[98:99], s[34:35]
	v_pk_fma_f32 v[88:89], v[38:39], s[30:31], v[84:85] op_sel:[0,0,1] op_sel_hi:[1,0,0]
	v_pk_fma_f32 v[84:85], v[38:39], s[30:31], v[84:85] op_sel:[0,0,1] op_sel_hi:[1,0,0] neg_lo:[0,0,1] neg_hi:[0,0,1]
	v_mov_b32_e32 v92, v88
	v_mov_b32_e32 v93, v85
	v_pk_add_f32 v[92:93], v[92:93], v[90:91]
	v_pk_mul_f32 v[90:91], v[40:41], s[18:19] op_sel_hi:[1,0]
	s_mov_b32 s36, 0x3e750f2a
	v_pk_fma_f32 v[96:97], v[30:31], s[2:3], v[90:91] op_sel:[0,0,1] op_sel_hi:[1,0,0]
	v_pk_fma_f32 v[90:91], v[30:31], s[2:3], v[90:91] op_sel:[0,0,1] op_sel_hi:[1,0,0] neg_lo:[0,0,1] neg_hi:[0,0,1]
	v_mov_b32_e32 v94, v96
	v_mov_b32_e32 v95, v91
	v_pk_add_f32 v[102:103], v[94:95], v[92:93]
	v_pk_mul_f32 v[94:95], v[26:27], s[22:23] op_sel_hi:[1,0]
	s_mov_b32 s38, 0x3f52af12
	v_pk_fma_f32 v[92:93], v[22:23], s[14:15], v[94:95] op_sel:[0,0,1] op_sel_hi:[1,0,0]
	v_pk_fma_f32 v[94:95], v[22:23], s[14:15], v[94:95] op_sel:[0,0,1] op_sel_hi:[1,0,0] neg_lo:[0,0,1] neg_hi:[0,0,1]
	v_mov_b32_e32 v104, v92
	v_mov_b32_e32 v105, v95
	v_pk_add_f32 v[102:103], v[104:105], v[102:103]
	ds_write2_b64 v24, v[100:101], v[102:103] offset0:2 offset1:3
	v_pk_mul_f32 v[100:101], v[72:73], s[16:17]
	s_mov_b32 s15, s34
	v_pk_fma_f32 v[102:103], v[6:7], s[8:9], v[100:101]
	v_pk_fma_f32 v[104:105], v[6:7], s[8:9], v[100:101] neg_lo:[1,0,0] neg_hi:[1,0,0]
	v_pk_fma_f32 v[108:109], v[4:5], s[14:15], v[106:107]
	v_mov_b32_e32 v104, v102
	v_pk_fma_f32 v[110:111], v[4:5], s[14:15], v[106:107] neg_lo:[1,0,0] neg_hi:[1,0,0]
	v_pk_add_f32 v[104:105], v[104:105], v[2:3]
	v_mov_b32_e32 v110, v108
	v_pk_add_f32 v[104:105], v[110:111], v[104:105]
	v_pk_mul_f32 v[110:111], v[48:49], s[20:21] op_sel_hi:[1,0]
	s_mov_b32 s23, s14
	v_pk_fma_f32 v[112:113], v[44:45], s[30:31], v[110:111] op_sel:[0,0,1] op_sel_hi:[1,0,0]
	v_pk_fma_f32 v[110:111], v[44:45], s[30:31], v[110:111] op_sel:[0,0,1] op_sel_hi:[1,0,0] neg_lo:[0,0,1] neg_hi:[0,0,1]
	v_mov_b32_e32 v114, v112
	v_mov_b32_e32 v115, v111
	v_pk_add_f32 v[104:105], v[114:115], v[104:105]
	v_pk_mul_f32 v[114:115], v[46:47], s[26:27] op_sel_hi:[1,0]
	s_mov_b32 s26, s14
	v_pk_fma_f32 v[116:117], v[38:39], s[6:7], v[114:115] op_sel:[0,0,1] op_sel_hi:[1,0,0]
	v_pk_fma_f32 v[114:115], v[38:39], s[6:7], v[114:115] op_sel:[0,0,1] op_sel_hi:[1,0,0] neg_lo:[0,0,1] neg_hi:[0,0,1]
	v_mov_b32_e32 v118, v116
	;; [unrolled: 7-line block ×4, first 2 shown]
	v_mov_b32_e32 v127, v123
	v_pk_add_f32 v[104:105], v[126:127], v[104:105]
	v_pk_mul_f32 v[126:127], v[72:73], s[22:23]
	s_mov_b32 s34, s6
	v_pk_fma_f32 v[128:129], v[6:7], s[26:27], v[126:127]
	v_pk_fma_f32 v[130:131], v[6:7], s[26:27], v[126:127] neg_lo:[1,0,0] neg_hi:[1,0,0]
	s_mov_b32 s35, s28
	v_pk_mul_f32 v[132:133], v[98:99], s[28:29]
	v_mov_b32_e32 v130, v128
	v_pk_fma_f32 v[134:135], v[4:5], s[34:35], v[132:133]
	v_pk_fma_f32 v[136:137], v[4:5], s[34:35], v[132:133] neg_lo:[1,0,0] neg_hi:[1,0,0]
	v_pk_add_f32 v[130:131], v[130:131], v[2:3]
	v_mov_b32_e32 v136, v134
	v_pk_add_f32 v[130:131], v[136:137], v[130:131]
	v_pk_mul_f32 v[136:137], v[48:49], s[18:19] op_sel_hi:[1,0]
	v_pk_mul_f32 v[48:49], v[48:49], s[22:23] op_sel_hi:[1,0]
	v_pk_fma_f32 v[138:139], v[44:45], s[2:3], v[136:137] op_sel:[0,0,1] op_sel_hi:[1,0,0]
	v_pk_fma_f32 v[136:137], v[44:45], s[2:3], v[136:137] op_sel:[0,0,1] op_sel_hi:[1,0,0] neg_lo:[0,0,1] neg_hi:[0,0,1]
	v_mov_b32_e32 v140, v138
	v_mov_b32_e32 v141, v137
	v_pk_add_f32 v[130:131], v[140:141], v[130:131]
	v_pk_mul_f32 v[140:141], v[46:47], s[36:37] op_sel_hi:[1,0]
	v_pk_mul_f32 v[46:47], v[46:47], s[38:39] op_sel_hi:[1,0]
	v_pk_fma_f32 v[142:143], v[38:39], s[12:13], v[140:141] op_sel:[0,0,1] op_sel_hi:[1,0,0]
	v_pk_fma_f32 v[140:141], v[38:39], s[12:13], v[140:141] op_sel:[0,0,1] op_sel_hi:[1,0,0] neg_lo:[0,0,1] neg_hi:[0,0,1]
	v_mov_b32_e32 v144, v142
	;; [unrolled: 7-line block ×3, first 2 shown]
	v_mov_b32_e32 v149, v145
	v_pk_add_f32 v[130:131], v[148:149], v[130:131]
	v_pk_mul_f32 v[148:149], v[26:27], s[16:17] op_sel_hi:[1,0]
	v_pk_mul_f32 v[98:99], v[98:99], s[20:21]
	v_pk_fma_f32 v[150:151], v[22:23], s[8:9], v[148:149] op_sel:[0,0,1] op_sel_hi:[1,0,0]
	v_pk_fma_f32 v[148:149], v[22:23], s[8:9], v[148:149] op_sel:[0,0,1] op_sel_hi:[1,0,0] neg_lo:[0,0,1] neg_hi:[0,0,1]
	v_mov_b32_e32 v152, v150
	v_mov_b32_e32 v153, v149
	v_pk_add_f32 v[130:131], v[152:153], v[130:131]
	ds_write2_b64 v24, v[104:105], v[130:131] offset0:4 offset1:5
	v_pk_fma_f32 v[104:105], v[44:45], s[14:15], v[48:49] op_sel:[0,0,1] op_sel_hi:[1,0,0]
	v_pk_fma_f32 v[44:45], v[44:45], s[14:15], v[48:49] op_sel:[0,0,1] op_sel_hi:[1,0,0] neg_lo:[0,0,1] neg_hi:[0,0,1]
	v_pk_fma_f32 v[48:49], v[38:39], s[2:3], v[46:47] op_sel:[0,0,1] op_sel_hi:[1,0,0]
	v_pk_fma_f32 v[38:39], v[38:39], s[2:3], v[46:47] op_sel:[0,0,1] op_sel_hi:[1,0,0] neg_lo:[0,0,1] neg_hi:[0,0,1]
	;; [unrolled: 2-line block ×3, first 2 shown]
	v_pk_mul_f32 v[40:41], v[72:73], s[24:25]
	s_mov_b32 s16, s21
	v_pk_fma_f32 v[72:73], v[6:7], s[12:13], v[40:41]
	v_pk_fma_f32 v[130:131], v[6:7], s[12:13], v[40:41] neg_lo:[1,0,0] neg_hi:[1,0,0]
	s_mov_b32 s17, s20
	v_mov_b32_e32 v130, v72
	v_pk_fma_f32 v[152:153], v[4:5], s[16:17], v[98:99]
	v_pk_fma_f32 v[154:155], v[4:5], s[16:17], v[98:99] neg_lo:[1,0,0] neg_hi:[1,0,0]
	v_pk_fma_f32 v[40:41], v[6:7], s[12:13], v[40:41] neg_lo:[0,0,1] neg_hi:[0,0,1]
	v_mov_b32_e32 v154, v152
	v_pk_add_f32 v[130:131], v[130:131], v[2:3]
	v_mov_b32_e32 v41, v73
	v_pk_fma_f32 v[72:73], v[4:5], s[16:17], v[98:99] neg_lo:[0,0,1] neg_hi:[0,0,1]
	v_pk_add_f32 v[130:131], v[154:155], v[130:131]
	v_mov_b32_e32 v154, v104
	v_mov_b32_e32 v155, v45
	;; [unrolled: 1-line block ×3, first 2 shown]
	v_pk_add_f32 v[40:41], v[40:41], v[2:3]
	v_pk_add_f32 v[130:131], v[154:155], v[130:131]
	v_mov_b32_e32 v154, v48
	v_mov_b32_e32 v155, v39
	;; [unrolled: 1-line block ×3, first 2 shown]
	v_pk_add_f32 v[40:41], v[72:73], v[40:41]
	v_pk_add_f32 v[130:131], v[154:155], v[130:131]
	v_mov_b32_e32 v154, v46
	v_mov_b32_e32 v155, v31
	v_pk_mul_f32 v[26:27], v[26:27], s[28:29] op_sel_hi:[1,0]
	v_mov_b32_e32 v39, v49
	v_pk_add_f32 v[40:41], v[44:45], v[40:41]
	v_pk_add_f32 v[130:131], v[154:155], v[130:131]
	v_pk_fma_f32 v[154:155], v[22:23], s[6:7], v[26:27] op_sel:[0,0,1] op_sel_hi:[1,0,0]
	v_pk_fma_f32 v[22:23], v[22:23], s[6:7], v[26:27] op_sel:[0,0,1] op_sel_hi:[1,0,0] neg_lo:[0,0,1] neg_hi:[0,0,1]
	v_mov_b32_e32 v31, v47
	v_pk_add_f32 v[38:39], v[38:39], v[40:41]
	v_mov_b32_e32 v14, v16
	v_pk_fma_f32 v[16:17], v[6:7], s[10:11], v[20:21] neg_lo:[0,0,1] neg_hi:[0,0,1]
	v_mov_b32_e32 v26, v154
	v_mov_b32_e32 v27, v23
	v_pk_add_f32 v[30:31], v[30:31], v[38:39]
	v_mov_b32_e32 v23, v155
	v_mov_b32_e32 v17, v25
	v_pk_add_f32 v[26:27], v[26:27], v[130:131]
	v_pk_add_f32 v[22:23], v[22:23], v[30:31]
	v_mov_b32_e32 v0, v8
	v_pk_add_f32 v[16:17], v[16:17], v[2:3]
	ds_write2_b64 v24, v[26:27], v[22:23] offset0:6 offset1:7
	v_pk_fma_f32 v[22:23], v[6:7], s[26:27], v[126:127] neg_lo:[0,0,1] neg_hi:[0,0,1]
	v_mov_b32_e32 v10, v12
	v_pk_add_f32 v[0:1], v[0:1], v[16:17]
	v_mov_b32_e32 v23, v129
	v_pk_fma_f32 v[26:27], v[4:5], s[34:35], v[132:133] neg_lo:[0,0,1] neg_hi:[0,0,1]
	v_pk_add_f32 v[0:1], v[10:11], v[0:1]
	v_mov_b32_e32 v27, v135
	v_pk_add_f32 v[22:23], v[22:23], v[2:3]
	v_mov_b32_e32 v8, v18
	v_pk_add_f32 v[0:1], v[14:15], v[0:1]
	v_pk_add_f32 v[22:23], v[26:27], v[22:23]
	v_pk_fma_f32 v[26:27], v[6:7], s[8:9], v[100:101] neg_lo:[0,0,1] neg_hi:[0,0,1]
	v_pk_add_f32 v[0:1], v[8:9], v[0:1]
	v_pk_fma_f32 v[8:9], v[6:7], s[6:7], v[76:77] neg_lo:[0,0,1] neg_hi:[0,0,1]
	v_pk_fma_f32 v[6:7], v[6:7], s[2:3], v[28:29] neg_lo:[0,0,1] neg_hi:[0,0,1]
	v_mov_b32_e32 v27, v103
	v_pk_fma_f32 v[30:31], v[4:5], s[14:15], v[106:107] neg_lo:[0,0,1] neg_hi:[0,0,1]
	v_mov_b32_e32 v9, v75
	;; [unrolled: 2-line block ×4, first 2 shown]
	v_pk_add_f32 v[26:27], v[26:27], v[2:3]
	v_mov_b32_e32 v11, v79
	v_pk_add_f32 v[8:9], v[8:9], v[2:3]
	v_mov_b32_e32 v5, v53
	;; [unrolled: 2-line block ×3, first 2 shown]
	v_mov_b32_e32 v111, v113
	v_pk_add_f32 v[26:27], v[30:31], v[26:27]
	v_mov_b32_e32 v83, v87
	v_pk_add_f32 v[8:9], v[10:11], v[8:9]
	;; [unrolled: 2-line block ×11, first 2 shown]
	v_pk_add_f32 v[22:23], v[144:145], v[22:23]
	v_mov_b32_e32 v149, v151
	v_pk_add_f32 v[26:27], v[118:119], v[26:27]
	v_mov_b32_e32 v123, v125
	;; [unrolled: 2-line block ×4, first 2 shown]
	s_movk_i32 s2, 0xffa0
	v_pk_add_f32 v[22:23], v[148:149], v[22:23]
	v_pk_add_f32 v[26:27], v[122:123], v[26:27]
	v_mov_b32_e32 v12, v42
	v_pk_add_f32 v[8:9], v[94:95], v[8:9]
	v_pk_add_f32 v[2:3], v[70:71], v[2:3]
	v_mad_i32_i24 v42, v34, s2, v24
	ds_write2_b64 v24, v[22:23], v[26:27] offset0:8 offset1:9
	v_pk_add_f32 v[0:1], v[12:13], v[0:1]
	ds_write2_b64 v24, v[8:9], v[2:3] offset0:10 offset1:11
	ds_write_b64 v24, v[0:1] offset:96
	v_add_u32_e32 v3, 0x800, v42
	s_waitcnt lgkmcnt(0)
	s_barrier
	ds_read2_b64 v[24:27], v3 offset0:160 offset1:251
	v_add_u32_e32 v3, 0x1000, v42
	v_add_u32_e32 v2, 0x400, v42
	ds_read2_b64 v[28:31], v3 offset0:73 offset1:164
	v_add_u32_e32 v3, 0x1400, v42
	v_lshl_add_u32 v43, v34, 3, v19
	ds_read2_b64 v[12:15], v42 offset0:78 offset1:169
	ds_read2_b64 v[16:19], v2 offset0:119 offset1:210
	;; [unrolled: 1-line block ×3, first 2 shown]
	ds_read_b64 v[38:39], v43
	ds_read_b64 v[40:41], v42 offset:7384
	v_cmp_gt_u32_e32 vcc, 13, v34
                                        ; implicit-def: $vgpr6
                                        ; implicit-def: $vgpr10
	s_and_saveexec_b64 s[2:3], vcc
	s_cbranch_execz .LBB0_13
; %bb.12:
	v_add_u32_e32 v4, 0xe00, v42
	ds_read2_b64 v[8:11], v4 offset0:46 offset1:215
	v_add_u32_e32 v4, 0x1800, v42
	ds_read2_b64 v[0:3], v2 offset0:28 offset1:197
	ds_read2_b64 v[4:7], v4 offset0:64 offset1:233
.LBB0_13:
	s_or_b64 exec, exec, s[2:3]
	s_movk_i32 s12, 0x4f
	v_add_u16_e32 v45, 0x4e, v34
	v_mul_lo_u16_sdwa v44, v34, s12 dst_sel:DWORD dst_unused:UNUSED_PAD src0_sel:BYTE_0 src1_sel:DWORD
	v_mul_lo_u16_sdwa v46, v45, s12 dst_sel:DWORD dst_unused:UNUSED_PAD src0_sel:BYTE_0 src1_sel:DWORD
	v_lshrrev_b16_e32 v66, 10, v44
	v_lshrrev_b16_e32 v68, 10, v46
	v_mul_lo_u16_e32 v44, 13, v66
	v_mul_lo_u16_e32 v46, 13, v68
	v_sub_u16_e32 v67, v34, v44
	v_mov_b32_e32 v44, 5
	v_sub_u16_e32 v69, v45, v46
	v_mul_u32_u24_sdwa v45, v69, v44 dst_sel:DWORD dst_unused:UNUSED_PAD src0_sel:BYTE_0 src1_sel:DWORD
	v_lshlrev_b32_e32 v45, 3, v45
	global_load_dwordx4 v[46:49], v45, s[4:5]
	global_load_dwordx2 v[62:63], v45, s[4:5] offset:32
	global_load_dwordx4 v[50:53], v45, s[4:5] offset:16
	v_mul_u32_u24_sdwa v45, v67, v44 dst_sel:DWORD dst_unused:UNUSED_PAD src0_sel:BYTE_0 src1_sel:DWORD
	v_lshlrev_b32_e32 v45, 3, v45
	global_load_dwordx4 v[54:57], v45, s[4:5]
	global_load_dwordx4 v[58:61], v45, s[4:5] offset:16
	global_load_dwordx2 v[64:65], v45, s[4:5] offset:32
	s_movk_i32 s7, 0x270
	v_mov_b32_e32 v45, 3
	v_lshlrev_b32_e32 v35, 3, v35
	v_mad_u32_u24 v66, v66, s7, 0
	v_lshlrev_b32_sdwa v67, v45, v67 dst_sel:DWORD dst_unused:UNUSED_PAD src0_sel:DWORD src1_sel:BYTE_0
	v_add3_u32 v73, v66, v67, v35
	v_mad_u32_u24 v68, v68, s7, 0
	v_lshlrev_b32_sdwa v69, v45, v69 dst_sel:DWORD dst_unused:UNUSED_PAD src0_sel:DWORD src1_sel:BYTE_0
	s_mov_b32 s2, 0.5
	v_add3_u32 v88, v68, v69, v35
	s_mov_b32 s3, 0x3f5db3d7
	s_mov_b32 s10, s3
	;; [unrolled: 1-line block ×4, first 2 shown]
	s_waitcnt lgkmcnt(0)
	s_barrier
	s_mov_b32 s6, -0.5
	s_mov_b32 s7, s3
	s_waitcnt vmcnt(5)
	v_pk_mul_f32 v[66:67], v[46:47], v[16:17] op_sel:[0,1]
	s_waitcnt vmcnt(4)
	v_pk_mul_f32 v[74:75], v[40:41], v[62:63] op_sel:[0,1]
	v_pk_fma_f32 v[86:87], v[46:47], v[16:17], v[66:67] op_sel:[0,0,1] op_sel_hi:[1,0,0]
	s_waitcnt vmcnt(2)
	v_pk_mul_f32 v[76:77], v[54:55], v[14:15] op_sel:[0,1]
	v_pk_mul_f32 v[78:79], v[56:57], v[18:19] op_sel:[0,1]
	s_waitcnt vmcnt(1)
	v_pk_mul_f32 v[80:81], v[58:59], v[26:27] op_sel:[0,1]
	v_pk_mul_f32 v[82:83], v[60:61], v[30:31] op_sel:[0,1]
	s_waitcnt vmcnt(0)
	v_pk_mul_f32 v[84:85], v[64:65], v[22:23] op_sel:[0,1]
	v_pk_fma_f32 v[16:17], v[46:47], v[16:17], v[66:67] op_sel:[0,0,1] op_sel_hi:[1,0,0] neg_lo:[1,0,0] neg_hi:[1,0,0]
	v_pk_fma_f32 v[66:67], v[40:41], v[62:63], v[74:75] op_sel:[0,0,1] op_sel_hi:[1,1,0]
	v_pk_fma_f32 v[40:41], v[40:41], v[62:63], v[74:75] op_sel:[0,0,1] op_sel_hi:[1,0,0] neg_lo:[0,0,1] neg_hi:[0,0,1]
	v_pk_fma_f32 v[62:63], v[54:55], v[14:15], v[76:77] op_sel:[0,0,1] op_sel_hi:[1,0,0]
	;; [unrolled: 2-line block ×6, first 2 shown]
	v_pk_fma_f32 v[22:23], v[64:65], v[22:23], v[84:85] op_sel:[0,0,1] op_sel_hi:[1,0,0] neg_lo:[1,0,0] neg_hi:[1,0,0]
	v_mov_b32_e32 v57, v27
	v_mov_b32_e32 v61, v23
	v_pk_mul_f32 v[68:69], v[48:49], v[24:25] op_sel:[0,1]
	v_pk_mul_f32 v[70:71], v[50:51], v[28:29] op_sel:[0,1]
	v_mov_b32_e32 v72, v53
	v_mov_b32_e32 v59, v31
	v_pk_add_f32 v[30:31], v[56:57], v[60:61]
	v_pk_fma_f32 v[46:47], v[48:49], v[24:25], v[68:69] op_sel:[0,0,1] op_sel_hi:[1,1,0]
	v_pk_fma_f32 v[24:25], v[48:49], v[24:25], v[68:69] op_sel:[0,0,1] op_sel_hi:[1,0,0] neg_lo:[1,0,0] neg_hi:[1,0,0]
	v_pk_fma_f32 v[48:49], v[50:51], v[28:29], v[70:71] op_sel:[0,0,1] op_sel_hi:[1,1,0]
	v_pk_fma_f32 v[28:29], v[50:51], v[28:29], v[70:71] op_sel:[0,0,1] op_sel_hi:[1,0,0] neg_lo:[1,0,0] neg_hi:[1,0,0]
	v_pk_mul_f32 v[50:51], v[20:21], v[72:73] op_sel_hi:[1,0]
	v_mov_b32_e32 v67, v41
	v_mov_b32_e32 v63, v15
	;; [unrolled: 1-line block ×4, first 2 shown]
	v_pk_add_f32 v[40:41], v[56:57], v[60:61] neg_lo:[0,1] neg_hi:[0,1]
	v_fmac_f32_e32 v15, -0.5, v31
	v_mov_b32_e32 v87, v17
	v_mov_b32_e32 v47, v25
	;; [unrolled: 1-line block ×3, first 2 shown]
	v_pk_fma_f32 v[24:25], v[20:21], v[52:53], v[50:51] op_sel:[0,0,1] op_sel_hi:[1,1,0]
	v_pk_fma_f32 v[20:21], v[20:21], v[52:53], v[50:51] op_sel:[0,0,1] op_sel_hi:[1,0,0] neg_lo:[0,0,1] neg_hi:[0,0,1]
	v_pk_add_f32 v[28:29], v[38:39], v[54:55]
	v_fmac_f32_e32 v16, -0.5, v30
	v_pk_add_f32 v[50:51], v[62:63], v[56:57]
	v_fmamk_f32 v52, v40, 0x3f5db3d7, v15
	v_pk_add_f32 v[56:57], v[54:55], v[58:59]
	v_pk_add_f32 v[54:55], v[54:55], v[58:59] neg_lo:[0,1] neg_hi:[0,1]
	v_mov_b32_e32 v14, v86
	v_mov_b32_e32 v25, v21
	v_pk_add_f32 v[20:21], v[48:49], v[66:67]
	v_pk_add_f32 v[22:23], v[48:49], v[66:67] neg_lo:[0,1] neg_hi:[0,1]
	v_pk_add_f32 v[26:27], v[86:87], v[48:49]
	v_fmamk_f32 v48, v41, 0xbf5db3d7, v16
	v_pk_fma_f32 v[38:39], v[56:57], 0.5, v[38:39] op_sel_hi:[1,0,1] neg_lo:[1,0,0] neg_hi:[1,0,0]
	v_pk_mul_f32 v[54:55], v[54:55], s[10:11] op_sel_hi:[1,0]
	v_pk_mul_f32 v[52:53], v[52:53], s[8:9] op_sel_hi:[0,1]
	v_fmac_f32_e32 v14, -0.5, v20
	v_fmac_f32_e32 v17, -0.5, v21
	v_pk_add_f32 v[20:21], v[28:29], v[58:59]
	v_pk_add_f32 v[56:57], v[38:39], v[54:55] op_sel:[0,1] op_sel_hi:[1,0] neg_lo:[0,1] neg_hi:[0,1]
	v_pk_add_f32 v[38:39], v[38:39], v[54:55] op_sel:[0,1] op_sel_hi:[1,0]
	v_pk_fma_f32 v[58:59], v[48:49], s[2:3], v[52:53] neg_lo:[0,0,1] neg_hi:[0,0,1]
	v_pk_fma_f32 v[48:49], v[48:49], s[2:3], v[52:53] op_sel_hi:[0,1,1]
	v_pk_add_f32 v[50:51], v[50:51], v[60:61]
	v_mov_b32_e32 v54, v56
	v_mov_b32_e32 v55, v39
	;; [unrolled: 1-line block ×3, first 2 shown]
	v_fmac_f32_e32 v16, 0x3f5db3d7, v41
	v_fmac_f32_e32 v15, 0xbf5db3d7, v40
	v_pk_add_f32 v[40:41], v[20:21], v[50:51]
	v_pk_add_f32 v[48:49], v[54:55], v[58:59]
	ds_write2_b64 v73, v[40:41], v[48:49] offset1:13
	v_mov_b32_e32 v40, v15
	v_fmamk_f32 v30, v22, 0x3f5db3d7, v17
	v_fmac_f32_e32 v17, 0xbf5db3d7, v22
	v_pk_mul_f32 v[40:41], v[40:41], s[8:9] op_sel_hi:[0,1]
	v_pk_fma_f32 v[40:41], v[16:17], s[6:7], v[40:41] op_sel_hi:[0,1,1] neg_lo:[0,0,1] neg_hi:[0,0,1]
	v_mov_b32_e32 v39, v57
	v_pk_add_f32 v[48:49], v[38:39], v[40:41]
	v_pk_add_f32 v[20:21], v[20:21], v[50:51] neg_lo:[0,1] neg_hi:[0,1]
	ds_write2_b64 v73, v[48:49], v[20:21] offset0:26 offset1:39
	v_pk_add_f32 v[20:21], v[54:55], v[58:59] neg_lo:[0,1] neg_hi:[0,1]
	v_pk_add_f32 v[38:39], v[38:39], v[40:41] neg_lo:[0,1] neg_hi:[0,1]
	ds_write2_b64 v73, v[20:21], v[38:39] offset0:52 offset1:65
	v_pk_add_f32 v[20:21], v[46:47], v[24:25]
	v_pk_add_f32 v[18:19], v[12:13], v[46:47]
	v_pk_fma_f32 v[12:13], v[20:21], 0.5, v[12:13] op_sel_hi:[1,0,1] neg_lo:[1,0,0] neg_hi:[1,0,0]
	v_pk_add_f32 v[20:21], v[46:47], v[24:25] neg_lo:[0,1] neg_hi:[0,1]
	v_mov_b32_e32 v16, v17
	v_pk_mul_f32 v[20:21], v[20:21], s[10:11] op_sel_hi:[1,0]
	v_pk_add_f32 v[18:19], v[18:19], v[24:25]
	v_fmamk_f32 v28, v23, 0xbf5db3d7, v14
	v_fmac_f32_e32 v14, 0x3f5db3d7, v23
	v_pk_add_f32 v[24:25], v[12:13], v[20:21] op_sel:[0,1] op_sel_hi:[1,0] neg_lo:[0,1] neg_hi:[0,1]
	v_pk_add_f32 v[12:13], v[12:13], v[20:21] op_sel:[0,1] op_sel_hi:[1,0]
	v_pk_mul_f32 v[30:31], v[30:31], s[8:9] op_sel_hi:[0,1]
	v_pk_mul_f32 v[16:17], v[16:17], s[8:9] op_sel_hi:[0,1]
	v_pk_add_f32 v[26:27], v[26:27], v[66:67]
	v_mov_b32_e32 v21, v13
	v_pk_fma_f32 v[38:39], v[28:29], s[2:3], v[30:31] neg_lo:[0,0,1] neg_hi:[0,0,1]
	v_pk_fma_f32 v[28:29], v[28:29], s[2:3], v[30:31] op_sel_hi:[0,1,1]
	v_pk_fma_f32 v[14:15], v[14:15], s[6:7], v[16:17] op_sel_hi:[0,1,1] neg_lo:[0,0,1] neg_hi:[0,0,1]
	v_mov_b32_e32 v13, v25
	v_pk_add_f32 v[22:23], v[18:19], v[26:27]
	v_mov_b32_e32 v20, v24
	v_mov_b32_e32 v39, v29
	v_pk_add_f32 v[16:17], v[12:13], v[14:15]
	v_pk_add_f32 v[18:19], v[18:19], v[26:27] neg_lo:[0,1] neg_hi:[0,1]
	v_pk_add_f32 v[28:29], v[20:21], v[38:39]
	ds_write2_b64 v88, v[16:17], v[18:19] offset0:26 offset1:39
	v_pk_add_f32 v[16:17], v[20:21], v[38:39] neg_lo:[0,1] neg_hi:[0,1]
	v_pk_add_f32 v[12:13], v[12:13], v[14:15] neg_lo:[0,1] neg_hi:[0,1]
	ds_write2_b64 v88, v[22:23], v[28:29] offset1:13
	ds_write2_b64 v88, v[16:17], v[12:13] offset0:52 offset1:65
	s_and_saveexec_b64 s[10:11], vcc
	s_cbranch_execz .LBB0_15
; %bb.14:
	v_add_u16_e32 v12, 0x9c, v34
	v_mul_lo_u16_sdwa v13, v12, s12 dst_sel:DWORD dst_unused:UNUSED_PAD src0_sel:BYTE_0 src1_sel:DWORD
	v_lshrrev_b16_e32 v13, 10, v13
	v_mul_lo_u16_e32 v13, 13, v13
	v_sub_u16_e32 v23, v12, v13
	v_mul_u32_u24_sdwa v12, v23, v44 dst_sel:DWORD dst_unused:UNUSED_PAD src0_sel:BYTE_0 src1_sel:DWORD
	v_lshlrev_b32_e32 v22, 3, v12
	global_load_dwordx4 v[12:15], v22, s[4:5]
	global_load_dwordx4 v[16:19], v22, s[4:5] offset:16
	global_load_dwordx2 v[20:21], v22, s[4:5] offset:32
	v_mov_b32_e32 v22, v9
	v_mov_b32_e32 v24, v5
	;; [unrolled: 1-line block ×5, first 2 shown]
	v_lshlrev_b32_sdwa v3, v45, v23 dst_sel:DWORD dst_unused:UNUSED_PAD src0_sel:DWORD src1_sel:BYTE_0
	v_add3_u32 v3, 0, v3, v35
	v_add_u32_e32 v35, 0x1800, v3
	s_mov_b32 s12, s3
	s_waitcnt vmcnt(2)
	v_pk_mul_f32 v[22:23], v[22:23], v[14:15] op_sel_hi:[0,1]
	s_waitcnt vmcnt(1)
	v_pk_mul_f32 v[24:25], v[24:25], v[18:19] op_sel_hi:[0,1]
	v_pk_mul_f32 v[28:29], v[28:29], v[16:17] op_sel_hi:[0,1]
	s_waitcnt vmcnt(0)
	v_pk_mul_f32 v[30:31], v[30:31], v[20:21] op_sel_hi:[0,1]
	v_pk_mul_f32 v[26:27], v[26:27], v[12:13] op_sel_hi:[0,1]
	v_pk_fma_f32 v[38:39], v[8:9], v[14:15], v[22:23] op_sel:[0,0,1] op_sel_hi:[1,1,0]
	v_pk_fma_f32 v[8:9], v[8:9], v[14:15], v[22:23] op_sel:[0,0,1] op_sel_hi:[0,1,0] neg_lo:[1,0,0] neg_hi:[1,0,0]
	v_pk_fma_f32 v[14:15], v[4:5], v[18:19], v[24:25] op_sel:[0,0,1] op_sel_hi:[1,1,0]
	v_pk_fma_f32 v[4:5], v[4:5], v[18:19], v[24:25] op_sel:[0,0,1] op_sel_hi:[0,1,0] neg_lo:[1,0,0] neg_hi:[1,0,0]
	;; [unrolled: 2-line block ×5, first 2 shown]
	v_mov_b32_e32 v19, v11
	v_mov_b32_e32 v17, v7
	;; [unrolled: 1-line block ×5, first 2 shown]
	v_pk_add_f32 v[4:5], v[18:19], v[16:17]
	v_mov_b32_e32 v2, v20
	v_pk_add_f32 v[6:7], v[18:19], v[16:17] neg_lo:[0,1] neg_hi:[0,1]
	v_pk_add_f32 v[8:9], v[0:1], v[38:39]
	v_pk_add_f32 v[10:11], v[20:21], v[18:19]
	;; [unrolled: 1-line block ×3, first 2 shown]
	v_pk_add_f32 v[18:19], v[38:39], v[14:15] neg_lo:[0,1] neg_hi:[0,1]
	v_fmac_f32_e32 v3, -0.5, v5
	v_fmac_f32_e32 v2, -0.5, v4
	v_pk_add_f32 v[4:5], v[8:9], v[14:15]
	v_pk_add_f32 v[8:9], v[10:11], v[16:17]
	v_pk_fma_f32 v[0:1], -0.5, v[12:13], v[0:1] op_sel_hi:[0,1,1]
	v_pk_mul_f32 v[10:11], v[18:19], s[12:13] op_sel_hi:[1,0]
	v_fmamk_f32 v14, v6, 0xbf5db3d7, v3
	v_fmac_f32_e32 v3, 0x3f5db3d7, v6
	v_pk_add_f32 v[16:17], v[0:1], v[10:11] op_sel:[0,1] op_sel_hi:[1,0] neg_lo:[0,1] neg_hi:[0,1]
	v_pk_add_f32 v[0:1], v[0:1], v[10:11] op_sel:[0,1] op_sel_hi:[1,0]
	v_mov_b32_e32 v10, v3
	v_fmamk_f32 v12, v7, 0x3f5db3d7, v2
	v_fmac_f32_e32 v2, 0xbf5db3d7, v7
	v_pk_mul_f32 v[14:15], v[14:15], s[8:9] op_sel_hi:[0,1]
	v_pk_mul_f32 v[10:11], v[10:11], s[8:9] op_sel_hi:[0,1]
	v_pk_fma_f32 v[12:13], v[12:13], s[6:7], v[14:15] op_sel_hi:[0,1,1] neg_lo:[0,0,1] neg_hi:[0,0,1]
	v_pk_fma_f32 v[14:15], v[2:3], s[2:3], v[10:11] neg_lo:[0,0,1] neg_hi:[0,0,1]
	v_pk_fma_f32 v[2:3], v[2:3], s[2:3], v[10:11] op_sel_hi:[0,1,1]
	v_pk_add_f32 v[6:7], v[4:5], v[8:9]
	v_pk_add_f32 v[4:5], v[4:5], v[8:9] neg_lo:[0,1] neg_hi:[0,1]
	v_mov_b32_e32 v8, v16
	v_mov_b32_e32 v9, v1
	;; [unrolled: 1-line block ×4, first 2 shown]
	v_pk_add_f32 v[10:11], v[0:1], v[12:13]
	v_pk_add_f32 v[2:3], v[8:9], v[14:15]
	v_pk_add_f32 v[0:1], v[0:1], v[12:13] neg_lo:[0,1] neg_hi:[0,1]
	ds_write2_b64 v35, v[10:11], v[4:5] offset0:194 offset1:207
	v_pk_add_f32 v[4:5], v[8:9], v[14:15] neg_lo:[0,1] neg_hi:[0,1]
	ds_write2_b64 v35, v[6:7], v[2:3] offset0:168 offset1:181
	ds_write2_b64 v35, v[4:5], v[0:1] offset0:220 offset1:233
.LBB0_15:
	s_or_b64 exec, exec, s[10:11]
	s_waitcnt lgkmcnt(0)
	s_barrier
	s_and_saveexec_b64 s[2:3], s[0:1]
	s_cbranch_execz .LBB0_17
; %bb.16:
	v_mul_u32_u24_e32 v0, 12, v34
	v_lshlrev_b32_e32 v0, 3, v0
	global_load_dwordx4 v[4:7], v0, s[4:5] offset:600
	global_load_dwordx4 v[8:11], v0, s[4:5] offset:584
	;; [unrolled: 1-line block ×6, first 2 shown]
	v_add_u32_e32 v34, 0x400, v42
	v_lshl_add_u64 v[2:3], v[36:37], 3, v[32:33]
	v_add_u32_e32 v36, 0x1800, v42
	v_add_u32_e32 v40, 0x1400, v42
	v_add_u32_e32 v44, 0x1000, v42
	v_add_u32_e32 v48, 0x800, v42
	ds_read2_b64 v[28:31], v42 offset0:78 offset1:156
	ds_read_b64 v[0:1], v43
	ds_read2_b64 v[32:35], v34 offset0:106 offset1:184
	ds_read2_b64 v[36:39], v36 offset0:90 offset1:168
	;; [unrolled: 1-line block ×5, first 2 shown]
	s_waitcnt lgkmcnt(4)
	v_mov_b32_e32 v54, v35
	s_mov_b32 s0, 0xbeedf032
	v_mov_b32_e32 v52, v29
	s_mov_b32 s4, 0x3f62ad3f
	s_mov_b32 s14, 0xbf52af12
	;; [unrolled: 1-line block ×14, first 2 shown]
	s_waitcnt vmcnt(5)
	v_mov_b32_e32 v56, v7
	s_waitcnt lgkmcnt(3)
	v_pk_mul_f32 v[58:59], v[4:5], v[36:37] op_sel:[1,0]
	s_waitcnt vmcnt(4)
	v_mov_b32_e32 v60, v11
	s_waitcnt vmcnt(3)
	v_pk_mul_f32 v[78:79], v[12:13], v[32:33] op_sel:[0,1]
	s_waitcnt vmcnt(1) lgkmcnt(1)
	v_pk_mul_f32 v[72:73], v[20:21], v[44:45] op_sel:[1,0]
	s_waitcnt vmcnt(0)
	v_pk_mul_f32 v[74:75], v[24:25], v[28:29] op_sel_hi:[1,0]
	v_pk_mul_f32 v[76:77], v[26:27], v[30:31] op_sel:[0,1]
	v_pk_mul_f32 v[56:57], v[56:57], v[38:39] op_sel_hi:[0,1]
	v_pk_fma_f32 v[80:81], v[4:5], v[36:37], v[58:59] op_sel:[0,0,1] op_sel_hi:[1,1,0]
	v_pk_fma_f32 v[4:5], v[4:5], v[36:37], v[58:59] op_sel:[0,0,1] op_sel_hi:[0,1,0] neg_lo:[0,0,1] neg_hi:[0,0,1]
	v_pk_mul_f32 v[36:37], v[60:61], v[42:43] op_sel_hi:[0,1]
	v_pk_fma_f32 v[60:61], v[20:21], v[44:45], v[72:73] op_sel:[0,0,1] op_sel_hi:[1,1,0]
	v_pk_fma_f32 v[20:21], v[20:21], v[44:45], v[72:73] op_sel:[0,0,1] op_sel_hi:[0,1,0] neg_lo:[0,0,1] neg_hi:[0,0,1]
	v_pk_fma_f32 v[44:45], v[24:25], v[52:53], v[74:75] op_sel:[1,0,0] op_sel_hi:[0,1,1]
	v_pk_fma_f32 v[24:25], v[24:25], v[28:29], v[74:75] op_sel:[1,1,0] op_sel_hi:[0,1,1] neg_lo:[0,0,1] neg_hi:[0,0,1]
	;; [unrolled: 2-line block ×5, first 2 shown]
	v_mov_b32_e32 v70, v19
	v_mov_b32_e32 v45, v25
	;; [unrolled: 1-line block ×5, first 2 shown]
	v_pk_mul_f32 v[14:15], v[14:15], v[34:35] op_sel_hi:[1,0]
	v_pk_mul_f32 v[64:65], v[8:9], v[40:41] op_sel:[1,0]
	s_waitcnt lgkmcnt(0)
	v_pk_mul_f32 v[66:67], v[16:17], v[48:49] op_sel:[1,0]
	v_mov_b32_e32 v68, v23
	v_pk_mul_f32 v[58:59], v[70:71], v[50:51] op_sel_hi:[0,1]
	v_pk_add_f32 v[70:71], v[44:45], v[32:33] neg_lo:[0,1] neg_hi:[0,1]
	v_pk_fma_f32 v[54:55], v[62:63], v[54:55], v[14:15]
	v_pk_fma_f32 v[14:15], v[62:63], v[34:35], v[14:15] op_sel:[0,1,0] neg_lo:[0,0,1] neg_hi:[0,0,1]
	v_pk_fma_f32 v[34:35], v[8:9], v[40:41], v[64:65] op_sel:[0,0,1] op_sel_hi:[1,1,0]
	v_pk_fma_f32 v[8:9], v[8:9], v[40:41], v[64:65] op_sel:[0,0,1] op_sel_hi:[0,1,0] neg_lo:[0,0,1] neg_hi:[0,0,1]
	v_pk_fma_f32 v[40:41], v[16:17], v[48:49], v[66:67] op_sel:[0,0,1] op_sel_hi:[1,1,0]
	v_pk_fma_f32 v[16:17], v[16:17], v[48:49], v[66:67] op_sel:[0,0,1] op_sel_hi:[0,1,0] neg_lo:[0,0,1] neg_hi:[0,0,1]
	v_pk_mul_f32 v[48:49], v[68:69], v[46:47] op_sel_hi:[0,1]
	v_mov_b32_e32 v81, v5
	v_pk_fma_f32 v[38:39], v[10:11], v[42:43], v[36:37] op_sel:[0,0,1] op_sel_hi:[1,1,0]
	v_pk_fma_f32 v[4:5], v[10:11], v[42:43], v[36:37] op_sel:[0,0,1] op_sel_hi:[0,1,0] neg_lo:[0,0,1] neg_hi:[0,0,1]
	v_mov_b32_e32 v29, v27
	v_pk_add_f32 v[68:69], v[32:33], v[44:45]
	v_pk_mul_f32 v[6:7], v[70:71], s[0:1] op_sel_hi:[1,0]
	v_mov_b32_e32 v35, v9
	v_pk_fma_f32 v[36:37], v[22:23], v[46:47], v[48:49] op_sel:[0,0,1] op_sel_hi:[1,1,0]
	v_pk_fma_f32 v[8:9], v[22:23], v[46:47], v[48:49] op_sel:[0,0,1] op_sel_hi:[0,1,0] neg_lo:[0,0,1] neg_hi:[0,0,1]
	v_pk_fma_f32 v[42:43], v[18:19], v[50:51], v[58:59] op_sel:[0,0,1] op_sel_hi:[1,1,0]
	v_pk_fma_f32 v[10:11], v[18:19], v[50:51], v[58:59] op_sel:[0,0,1] op_sel_hi:[0,1,0] neg_lo:[0,0,1] neg_hi:[0,0,1]
	v_mov_b32_e32 v39, v5
	v_pk_add_f32 v[66:67], v[28:29], v[80:81] neg_lo:[0,1] neg_hi:[0,1]
	v_pk_fma_f32 v[4:5], v[68:69], s[4:5], v[6:7] op_sel:[0,0,1] op_sel_hi:[1,0,0]
	v_pk_fma_f32 v[6:7], v[68:69], s[4:5], v[6:7] op_sel:[0,0,1] op_sel_hi:[1,0,0] neg_lo:[0,0,1] neg_hi:[0,0,1]
	v_mov_b32_e32 v37, v9
	v_mov_b32_e32 v43, v11
	v_pk_add_f32 v[64:65], v[80:81], v[28:29]
	v_mov_b32_e32 v8, v4
	v_mov_b32_e32 v9, v7
	v_pk_mul_f32 v[10:11], v[66:67], s[14:15] op_sel_hi:[1,0]
	v_mov_b32_e32 v31, v13
	v_pk_add_f32 v[12:13], v[8:9], v[0:1]
	v_pk_fma_f32 v[8:9], v[64:65], s[2:3], v[10:11] op_sel:[0,0,1] op_sel_hi:[1,0,0]
	v_pk_fma_f32 v[10:11], v[64:65], s[2:3], v[10:11] op_sel:[0,0,1] op_sel_hi:[1,0,0] neg_lo:[0,0,1] neg_hi:[0,0,1]
	v_mov_b32_e32 v55, v15
	v_pk_add_f32 v[74:75], v[30:31], v[38:39] neg_lo:[0,1] neg_hi:[0,1]
	v_mov_b32_e32 v14, v8
	v_mov_b32_e32 v15, v11
	;; [unrolled: 1-line block ×3, first 2 shown]
	v_pk_add_f32 v[52:53], v[44:45], v[0:1]
	v_pk_add_f32 v[72:73], v[38:39], v[30:31]
	;; [unrolled: 1-line block ×3, first 2 shown]
	s_mov_b32 s0, 0x3df6dbef
	v_pk_mul_f32 v[14:15], v[74:75], s[22:23] op_sel_hi:[1,0]
	v_pk_add_f32 v[28:29], v[52:53], v[28:29]
	v_pk_fma_f32 v[12:13], v[72:73], s[0:1], v[14:15] op_sel:[0,0,1] op_sel_hi:[1,0,0]
	v_pk_fma_f32 v[14:15], v[72:73], s[0:1], v[14:15] op_sel:[0,0,1] op_sel_hi:[1,0,0] neg_lo:[0,0,1] neg_hi:[0,0,1]
	v_pk_add_f32 v[56:57], v[54:55], v[34:35] neg_lo:[0,1] neg_hi:[0,1]
	v_mov_b32_e32 v18, v12
	v_mov_b32_e32 v19, v15
	v_pk_add_f32 v[28:29], v[28:29], v[30:31]
	v_mov_b32_e32 v61, v21
	v_pk_add_f32 v[48:49], v[34:35], v[54:55]
	v_pk_add_f32 v[20:21], v[16:17], v[18:19]
	v_pk_mul_f32 v[18:19], v[56:57], s[8:9] op_sel_hi:[1,0]
	v_pk_add_f32 v[28:29], v[28:29], v[54:55]
	v_pk_fma_f32 v[16:17], v[48:49], s[6:7], v[18:19] op_sel:[0,0,1] op_sel_hi:[1,0,0]
	v_pk_fma_f32 v[18:19], v[48:49], s[6:7], v[18:19] op_sel:[0,0,1] op_sel_hi:[1,0,0] neg_lo:[0,0,1] neg_hi:[0,0,1]
	v_pk_add_f32 v[28:29], v[28:29], v[40:41]
	v_pk_add_f32 v[58:59], v[40:41], v[36:37] neg_lo:[0,1] neg_hi:[0,1]
	v_mov_b32_e32 v22, v16
	v_mov_b32_e32 v23, v19
	v_pk_add_f32 v[28:29], v[28:29], v[42:43]
	v_pk_add_f32 v[50:51], v[36:37], v[40:41]
	;; [unrolled: 1-line block ×3, first 2 shown]
	v_pk_mul_f32 v[22:23], v[58:59], s[12:13] op_sel_hi:[1,0]
	v_pk_add_f32 v[28:29], v[60:61], v[28:29]
	v_pk_fma_f32 v[20:21], v[50:51], s[10:11], v[22:23] op_sel:[0,0,1] op_sel_hi:[1,0,0]
	v_pk_fma_f32 v[22:23], v[50:51], s[10:11], v[22:23] op_sel:[0,0,1] op_sel_hi:[1,0,0] neg_lo:[0,0,1] neg_hi:[0,0,1]
	v_pk_add_f32 v[28:29], v[36:37], v[28:29]
	v_pk_add_f32 v[46:47], v[42:43], v[60:61] neg_lo:[0,1] neg_hi:[0,1]
	v_mov_b32_e32 v26, v20
	v_mov_b32_e32 v27, v23
	v_pk_add_f32 v[28:29], v[34:35], v[28:29]
	v_pk_add_f32 v[44:45], v[60:61], v[42:43]
	;; [unrolled: 1-line block ×3, first 2 shown]
	v_pk_mul_f32 v[26:27], v[46:47], s[18:19] op_sel_hi:[1,0]
	v_pk_add_f32 v[28:29], v[38:39], v[28:29]
	v_pk_fma_f32 v[24:25], v[44:45], s[16:17], v[26:27] op_sel:[0,0,1] op_sel_hi:[1,0,0]
	v_pk_fma_f32 v[26:27], v[44:45], s[16:17], v[26:27] op_sel:[0,0,1] op_sel_hi:[1,0,0] neg_lo:[0,0,1] neg_hi:[0,0,1]
	v_pk_add_f32 v[28:29], v[80:81], v[28:29]
	v_mov_b32_e32 v76, v24
	v_mov_b32_e32 v77, v27
	v_pk_add_f32 v[28:29], v[32:33], v[28:29]
	v_pk_mul_f32 v[30:31], v[70:71], s[14:15] op_sel_hi:[1,0]
	v_pk_add_f32 v[62:63], v[62:63], v[76:77]
	global_store_dwordx2 v[2:3], v[28:29], off
	global_store_dwordx2 v[2:3], v[62:63], off offset:624
	v_pk_fma_f32 v[28:29], v[68:69], s[2:3], v[30:31] op_sel:[0,0,1] op_sel_hi:[1,0,0]
	v_pk_fma_f32 v[30:31], v[68:69], s[2:3], v[30:31] op_sel:[0,0,1] op_sel_hi:[1,0,0] neg_lo:[0,0,1] neg_hi:[0,0,1]
	v_mov_b32_e32 v32, v28
	v_mov_b32_e32 v33, v31
	v_pk_mul_f32 v[34:35], v[66:67], s[8:9] op_sel_hi:[1,0]
	v_pk_add_f32 v[36:37], v[32:33], v[0:1]
	v_pk_fma_f32 v[32:33], v[64:65], s[6:7], v[34:35] op_sel:[0,0,1] op_sel_hi:[1,0,0]
	v_pk_fma_f32 v[34:35], v[64:65], s[6:7], v[34:35] op_sel:[0,0,1] op_sel_hi:[1,0,0] neg_lo:[0,0,1] neg_hi:[0,0,1]
	v_mov_b32_e32 v38, v32
	v_mov_b32_e32 v39, v35
	v_pk_add_f32 v[40:41], v[36:37], v[38:39]
	v_pk_mul_f32 v[38:39], v[74:75], s[18:19] op_sel_hi:[1,0]
	v_pk_mul_f32 v[82:83], v[66:67], s[18:19] op_sel_hi:[1,0]
	v_pk_fma_f32 v[36:37], v[72:73], s[16:17], v[38:39] op_sel:[0,0,1] op_sel_hi:[1,0,0]
	v_pk_fma_f32 v[38:39], v[72:73], s[16:17], v[38:39] op_sel:[0,0,1] op_sel_hi:[1,0,0] neg_lo:[0,0,1] neg_hi:[0,0,1]
	v_mov_b32_e32 v42, v36
	v_mov_b32_e32 v43, v39
	v_pk_add_f32 v[52:53], v[40:41], v[42:43]
	v_pk_mul_f32 v[42:43], v[56:57], s[26:27] op_sel_hi:[1,0]
	v_pk_fma_f32 v[84:85], v[64:65], s[16:17], v[82:83] op_sel:[0,0,1] op_sel_hi:[1,0,0]
	v_pk_fma_f32 v[40:41], v[48:49], s[10:11], v[42:43] op_sel:[0,0,1] op_sel_hi:[1,0,0]
	v_pk_fma_f32 v[42:43], v[48:49], s[10:11], v[42:43] op_sel:[0,0,1] op_sel_hi:[1,0,0] neg_lo:[0,0,1] neg_hi:[0,0,1]
	v_mov_b32_e32 v54, v40
	v_mov_b32_e32 v55, v43
	v_pk_add_f32 v[60:61], v[52:53], v[54:55]
	v_pk_mul_f32 v[54:55], v[58:59], s[20:21] op_sel_hi:[1,0]
	v_pk_fma_f32 v[82:83], v[64:65], s[16:17], v[82:83] op_sel:[0,0,1] op_sel_hi:[1,0,0] neg_lo:[0,0,1] neg_hi:[0,0,1]
	v_pk_fma_f32 v[52:53], v[50:51], s[0:1], v[54:55] op_sel:[0,0,1] op_sel_hi:[1,0,0]
	v_pk_fma_f32 v[54:55], v[50:51], s[0:1], v[54:55] op_sel:[0,0,1] op_sel_hi:[1,0,0] neg_lo:[0,0,1] neg_hi:[0,0,1]
	v_mov_b32_e32 v62, v52
	v_mov_b32_e32 v63, v55
	v_pk_add_f32 v[76:77], v[60:61], v[62:63]
	v_pk_mul_f32 v[62:63], v[46:47], s[24:25] op_sel_hi:[1,0]
	v_mov_b32_e32 v86, v84
	v_pk_fma_f32 v[60:61], v[44:45], s[4:5], v[62:63] op_sel:[0,0,1] op_sel_hi:[1,0,0]
	v_pk_fma_f32 v[62:63], v[44:45], s[4:5], v[62:63] op_sel:[0,0,1] op_sel_hi:[1,0,0] neg_lo:[0,0,1] neg_hi:[0,0,1]
	v_mov_b32_e32 v78, v60
	v_mov_b32_e32 v79, v63
	v_pk_add_f32 v[76:77], v[76:77], v[78:79]
	global_store_dwordx2 v[2:3], v[76:77], off offset:1248
	v_pk_mul_f32 v[76:77], v[70:71], s[22:23] op_sel_hi:[1,0]
	v_mov_b32_e32 v87, v83
	v_pk_fma_f32 v[78:79], v[68:69], s[0:1], v[76:77] op_sel:[0,0,1] op_sel_hi:[1,0,0]
	v_pk_fma_f32 v[76:77], v[68:69], s[0:1], v[76:77] op_sel:[0,0,1] op_sel_hi:[1,0,0] neg_lo:[0,0,1] neg_hi:[0,0,1]
	v_mov_b32_e32 v80, v78
	v_mov_b32_e32 v81, v77
	v_pk_add_f32 v[80:81], v[80:81], v[0:1]
	v_pk_mul_f32 v[106:107], v[66:67], s[26:27] op_sel_hi:[1,0]
	v_pk_add_f32 v[80:81], v[80:81], v[86:87]
	v_pk_mul_f32 v[86:87], v[74:75], s[28:29] op_sel_hi:[1,0]
	v_pk_fma_f32 v[108:109], v[64:65], s[10:11], v[106:107] op_sel:[0,0,1] op_sel_hi:[1,0,0]
	v_pk_fma_f32 v[88:89], v[72:73], s[6:7], v[86:87] op_sel:[0,0,1] op_sel_hi:[1,0,0]
	v_pk_fma_f32 v[86:87], v[72:73], s[6:7], v[86:87] op_sel:[0,0,1] op_sel_hi:[1,0,0] neg_lo:[0,0,1] neg_hi:[0,0,1]
	v_mov_b32_e32 v90, v88
	v_mov_b32_e32 v91, v87
	v_pk_add_f32 v[80:81], v[80:81], v[90:91]
	v_pk_mul_f32 v[90:91], v[56:57], s[24:25] op_sel_hi:[1,0]
	v_pk_fma_f32 v[106:107], v[64:65], s[10:11], v[106:107] op_sel:[0,0,1] op_sel_hi:[1,0,0] neg_lo:[0,0,1] neg_hi:[0,0,1]
	v_pk_fma_f32 v[92:93], v[48:49], s[4:5], v[90:91] op_sel:[0,0,1] op_sel_hi:[1,0,0]
	v_pk_fma_f32 v[90:91], v[48:49], s[4:5], v[90:91] op_sel:[0,0,1] op_sel_hi:[1,0,0] neg_lo:[0,0,1] neg_hi:[0,0,1]
	v_mov_b32_e32 v94, v92
	v_mov_b32_e32 v95, v91
	v_pk_add_f32 v[80:81], v[80:81], v[94:95]
	v_pk_mul_f32 v[94:95], v[58:59], s[14:15] op_sel_hi:[1,0]
	v_mov_b32_e32 v110, v108
	v_pk_fma_f32 v[96:97], v[50:51], s[2:3], v[94:95] op_sel:[0,0,1] op_sel_hi:[1,0,0]
	v_pk_fma_f32 v[94:95], v[50:51], s[2:3], v[94:95] op_sel:[0,0,1] op_sel_hi:[1,0,0] neg_lo:[0,0,1] neg_hi:[0,0,1]
	v_mov_b32_e32 v98, v96
	v_mov_b32_e32 v99, v95
	v_pk_add_f32 v[80:81], v[80:81], v[98:99]
	v_pk_mul_f32 v[98:99], v[46:47], s[12:13] op_sel_hi:[1,0]
	v_mov_b32_e32 v111, v107
	v_pk_fma_f32 v[100:101], v[44:45], s[10:11], v[98:99] op_sel:[0,0,1] op_sel_hi:[1,0,0]
	v_pk_fma_f32 v[98:99], v[44:45], s[10:11], v[98:99] op_sel:[0,0,1] op_sel_hi:[1,0,0] neg_lo:[0,0,1] neg_hi:[0,0,1]
	v_mov_b32_e32 v102, v100
	v_mov_b32_e32 v103, v99
	v_pk_add_f32 v[80:81], v[80:81], v[102:103]
	global_store_dwordx2 v[2:3], v[80:81], off offset:1872
	v_pk_mul_f32 v[80:81], v[70:71], s[8:9] op_sel_hi:[1,0]
	s_mov_b32 s26, 0x3f52af12
	v_pk_fma_f32 v[102:103], v[68:69], s[6:7], v[80:81] op_sel:[0,0,1] op_sel_hi:[1,0,0]
	v_pk_fma_f32 v[80:81], v[68:69], s[6:7], v[80:81] op_sel:[0,0,1] op_sel_hi:[1,0,0] neg_lo:[0,0,1] neg_hi:[0,0,1]
	v_mov_b32_e32 v104, v102
	v_mov_b32_e32 v105, v81
	v_pk_add_f32 v[104:105], v[104:105], v[0:1]
	v_pk_mul_f32 v[130:131], v[66:67], s[20:21] op_sel_hi:[1,0]
	v_pk_add_f32 v[104:105], v[104:105], v[110:111]
	v_pk_mul_f32 v[110:111], v[74:75], s[24:25] op_sel_hi:[1,0]
	v_pk_fma_f32 v[132:133], v[64:65], s[0:1], v[130:131] op_sel:[0,0,1] op_sel_hi:[1,0,0]
	v_pk_fma_f32 v[112:113], v[72:73], s[4:5], v[110:111] op_sel:[0,0,1] op_sel_hi:[1,0,0]
	v_pk_fma_f32 v[110:111], v[72:73], s[4:5], v[110:111] op_sel:[0,0,1] op_sel_hi:[1,0,0] neg_lo:[0,0,1] neg_hi:[0,0,1]
	v_mov_b32_e32 v114, v112
	v_mov_b32_e32 v115, v111
	v_pk_add_f32 v[104:105], v[104:105], v[114:115]
	v_pk_mul_f32 v[114:115], v[56:57], s[22:23] op_sel_hi:[1,0]
	s_mov_b32 s22, 0x3e750f2a
	v_pk_fma_f32 v[116:117], v[48:49], s[0:1], v[114:115] op_sel:[0,0,1] op_sel_hi:[1,0,0]
	v_pk_fma_f32 v[114:115], v[48:49], s[0:1], v[114:115] op_sel:[0,0,1] op_sel_hi:[1,0,0] neg_lo:[0,0,1] neg_hi:[0,0,1]
	v_mov_b32_e32 v118, v116
	v_mov_b32_e32 v119, v115
	v_pk_add_f32 v[104:105], v[104:105], v[118:119]
	v_pk_mul_f32 v[118:119], v[58:59], s[22:23] op_sel_hi:[1,0]
	v_pk_fma_f32 v[130:131], v[64:65], s[0:1], v[130:131] op_sel:[0,0,1] op_sel_hi:[1,0,0] neg_lo:[0,0,1] neg_hi:[0,0,1]
	v_pk_fma_f32 v[120:121], v[50:51], s[16:17], v[118:119] op_sel:[0,0,1] op_sel_hi:[1,0,0]
	v_pk_fma_f32 v[118:119], v[50:51], s[16:17], v[118:119] op_sel:[0,0,1] op_sel_hi:[1,0,0] neg_lo:[0,0,1] neg_hi:[0,0,1]
	v_mov_b32_e32 v122, v120
	v_mov_b32_e32 v123, v119
	v_pk_add_f32 v[104:105], v[104:105], v[122:123]
	v_pk_mul_f32 v[122:123], v[46:47], s[26:27] op_sel_hi:[1,0]
	v_mov_b32_e32 v134, v132
	v_pk_fma_f32 v[124:125], v[44:45], s[2:3], v[122:123] op_sel:[0,0,1] op_sel_hi:[1,0,0]
	v_pk_fma_f32 v[122:123], v[44:45], s[2:3], v[122:123] op_sel:[0,0,1] op_sel_hi:[1,0,0] neg_lo:[0,0,1] neg_hi:[0,0,1]
	v_mov_b32_e32 v126, v124
	v_mov_b32_e32 v127, v123
	v_pk_add_f32 v[104:105], v[104:105], v[126:127]
	global_store_dwordx2 v[2:3], v[104:105], off offset:2496
	v_pk_mul_f32 v[104:105], v[70:71], s[12:13] op_sel_hi:[1,0]
	v_mov_b32_e32 v135, v131
	v_pk_fma_f32 v[126:127], v[68:69], s[10:11], v[104:105] op_sel:[0,0,1] op_sel_hi:[1,0,0]
	v_pk_fma_f32 v[104:105], v[68:69], s[10:11], v[104:105] op_sel:[0,0,1] op_sel_hi:[1,0,0] neg_lo:[0,0,1] neg_hi:[0,0,1]
	v_mov_b32_e32 v128, v126
	v_mov_b32_e32 v129, v105
	v_pk_add_f32 v[128:129], v[128:129], v[0:1]
	v_pk_mul_f32 v[70:71], v[70:71], s[18:19] op_sel_hi:[1,0]
	v_pk_add_f32 v[128:129], v[128:129], v[134:135]
	v_pk_mul_f32 v[134:135], v[74:75], s[14:15] op_sel_hi:[1,0]
	v_pk_mul_f32 v[66:67], v[66:67], s[24:25] op_sel_hi:[1,0]
	v_pk_fma_f32 v[136:137], v[72:73], s[2:3], v[134:135] op_sel:[0,0,1] op_sel_hi:[1,0,0]
	v_pk_fma_f32 v[134:135], v[72:73], s[2:3], v[134:135] op_sel:[0,0,1] op_sel_hi:[1,0,0] neg_lo:[0,0,1] neg_hi:[0,0,1]
	v_mov_b32_e32 v138, v136
	v_mov_b32_e32 v139, v135
	v_pk_add_f32 v[128:129], v[128:129], v[138:139]
	v_pk_mul_f32 v[138:139], v[56:57], s[22:23] op_sel_hi:[1,0]
	v_pk_mul_f32 v[74:75], v[74:75], s[12:13] op_sel_hi:[1,0]
	v_pk_fma_f32 v[140:141], v[48:49], s[16:17], v[138:139] op_sel:[0,0,1] op_sel_hi:[1,0,0]
	v_pk_fma_f32 v[138:139], v[48:49], s[16:17], v[138:139] op_sel:[0,0,1] op_sel_hi:[1,0,0] neg_lo:[0,0,1] neg_hi:[0,0,1]
	v_mov_b32_e32 v142, v140
	v_mov_b32_e32 v143, v139
	;; [unrolled: 7-line block ×4, first 2 shown]
	v_pk_add_f32 v[128:129], v[128:129], v[150:151]
	global_store_dwordx2 v[2:3], v[128:129], off offset:3120
	v_pk_fma_f32 v[128:129], v[68:69], s[16:17], v[70:71] op_sel:[0,0,1] op_sel_hi:[1,0,0]
	v_pk_fma_f32 v[68:69], v[68:69], s[16:17], v[70:71] op_sel:[0,0,1] op_sel_hi:[1,0,0] neg_lo:[0,0,1] neg_hi:[0,0,1]
	v_pk_fma_f32 v[70:71], v[64:65], s[4:5], v[66:67] op_sel:[0,0,1] op_sel_hi:[1,0,0]
	v_pk_fma_f32 v[64:65], v[64:65], s[4:5], v[66:67] op_sel:[0,0,1] op_sel_hi:[1,0,0] neg_lo:[0,0,1] neg_hi:[0,0,1]
	v_mov_b32_e32 v66, v128
	v_mov_b32_e32 v67, v69
	v_pk_add_f32 v[66:67], v[66:67], v[0:1]
	v_mov_b32_e32 v150, v70
	v_mov_b32_e32 v151, v65
	v_pk_add_f32 v[66:67], v[66:67], v[150:151]
	v_pk_fma_f32 v[150:151], v[72:73], s[10:11], v[74:75] op_sel:[0,0,1] op_sel_hi:[1,0,0]
	v_pk_fma_f32 v[72:73], v[72:73], s[10:11], v[74:75] op_sel:[0,0,1] op_sel_hi:[1,0,0] neg_lo:[0,0,1] neg_hi:[0,0,1]
	v_mov_b32_e32 v74, v150
	v_mov_b32_e32 v75, v73
	v_pk_add_f32 v[66:67], v[66:67], v[74:75]
	v_pk_fma_f32 v[74:75], v[48:49], s[2:3], v[56:57] op_sel:[0,0,1] op_sel_hi:[1,0,0]
	v_pk_fma_f32 v[48:49], v[48:49], s[2:3], v[56:57] op_sel:[0,0,1] op_sel_hi:[1,0,0] neg_lo:[0,0,1] neg_hi:[0,0,1]
	;; [unrolled: 5-line block ×3, first 2 shown]
	v_mov_b32_e32 v58, v66
	v_mov_b32_e32 v59, v51
	v_pk_mul_f32 v[46:47], v[46:47], s[20:21] op_sel_hi:[1,0]
	v_pk_add_f32 v[56:57], v[56:57], v[58:59]
	v_pk_fma_f32 v[58:59], v[44:45], s[0:1], v[46:47] op_sel:[0,0,1] op_sel_hi:[1,0,0]
	v_pk_fma_f32 v[44:45], v[44:45], s[0:1], v[46:47] op_sel:[0,0,1] op_sel_hi:[1,0,0] neg_lo:[0,0,1] neg_hi:[0,0,1]
	v_mov_b32_e32 v46, v58
	v_mov_b32_e32 v47, v45
	v_pk_add_f32 v[46:47], v[56:57], v[46:47]
	v_mov_b32_e32 v69, v129
	global_store_dwordx2 v[2:3], v[46:47], off offset:3744
	v_mov_b32_e32 v65, v71
	v_pk_add_f32 v[46:47], v[68:69], v[0:1]
	v_mov_b32_e32 v73, v151
	v_pk_add_f32 v[46:47], v[46:47], v[64:65]
	;; [unrolled: 2-line block ×4, first 2 shown]
	s_movk_i32 s0, 0x1000
	v_pk_add_f32 v[46:47], v[46:47], v[50:51]
	v_mov_b32_e32 v45, v59
	v_add_co_u32_e32 v2, vcc, s0, v2
	v_pk_add_f32 v[44:45], v[46:47], v[44:45]
	s_nop 0
	v_addc_co_u32_e32 v3, vcc, 0, v3, vcc
	v_mov_b32_e32 v105, v127
	global_store_dwordx2 v[2:3], v[44:45], off offset:272
	v_pk_add_f32 v[44:45], v[104:105], v[0:1]
	v_mov_b32_e32 v131, v133
	v_pk_add_f32 v[44:45], v[44:45], v[130:131]
	v_mov_b32_e32 v135, v137
	;; [unrolled: 2-line block ×6, first 2 shown]
	global_store_dwordx2 v[2:3], v[44:45], off offset:896
	v_pk_add_f32 v[44:45], v[80:81], v[0:1]
	v_mov_b32_e32 v107, v109
	v_pk_add_f32 v[44:45], v[44:45], v[106:107]
	v_mov_b32_e32 v111, v113
	;; [unrolled: 2-line block ×6, first 2 shown]
	v_mov_b32_e32 v31, v29
	v_mov_b32_e32 v7, v5
	global_store_dwordx2 v[2:3], v[44:45], off offset:1520
	v_pk_add_f32 v[44:45], v[76:77], v[0:1]
	v_mov_b32_e32 v83, v85
	v_pk_add_f32 v[28:29], v[30:31], v[0:1]
	v_mov_b32_e32 v35, v33
	;; [unrolled: 2-line block ×15, first 2 shown]
	v_pk_add_f32 v[44:45], v[44:45], v[98:99]
	v_pk_add_f32 v[28:29], v[28:29], v[62:63]
	v_pk_add_f32 v[0:1], v[0:1], v[26:27]
	global_store_dwordx2 v[2:3], v[44:45], off offset:2144
	global_store_dwordx2 v[2:3], v[28:29], off offset:2768
	;; [unrolled: 1-line block ×3, first 2 shown]
.LBB0_17:
	s_endpgm
	.section	.rodata,"a",@progbits
	.p2align	6, 0x0
	.amdhsa_kernel fft_rtc_back_len1014_factors_13_6_13_wgs_156_tpt_78_sp_ip_CI_unitstride_sbrr_dirReg
		.amdhsa_group_segment_fixed_size 0
		.amdhsa_private_segment_fixed_size 0
		.amdhsa_kernarg_size 88
		.amdhsa_user_sgpr_count 2
		.amdhsa_user_sgpr_dispatch_ptr 0
		.amdhsa_user_sgpr_queue_ptr 0
		.amdhsa_user_sgpr_kernarg_segment_ptr 1
		.amdhsa_user_sgpr_dispatch_id 0
		.amdhsa_user_sgpr_kernarg_preload_length 0
		.amdhsa_user_sgpr_kernarg_preload_offset 0
		.amdhsa_user_sgpr_private_segment_size 0
		.amdhsa_uses_dynamic_stack 0
		.amdhsa_enable_private_segment 0
		.amdhsa_system_sgpr_workgroup_id_x 1
		.amdhsa_system_sgpr_workgroup_id_y 0
		.amdhsa_system_sgpr_workgroup_id_z 0
		.amdhsa_system_sgpr_workgroup_info 0
		.amdhsa_system_vgpr_workitem_id 0
		.amdhsa_next_free_vgpr 156
		.amdhsa_next_free_sgpr 40
		.amdhsa_accum_offset 156
		.amdhsa_reserve_vcc 1
		.amdhsa_float_round_mode_32 0
		.amdhsa_float_round_mode_16_64 0
		.amdhsa_float_denorm_mode_32 3
		.amdhsa_float_denorm_mode_16_64 3
		.amdhsa_dx10_clamp 1
		.amdhsa_ieee_mode 1
		.amdhsa_fp16_overflow 0
		.amdhsa_tg_split 0
		.amdhsa_exception_fp_ieee_invalid_op 0
		.amdhsa_exception_fp_denorm_src 0
		.amdhsa_exception_fp_ieee_div_zero 0
		.amdhsa_exception_fp_ieee_overflow 0
		.amdhsa_exception_fp_ieee_underflow 0
		.amdhsa_exception_fp_ieee_inexact 0
		.amdhsa_exception_int_div_zero 0
	.end_amdhsa_kernel
	.text
.Lfunc_end0:
	.size	fft_rtc_back_len1014_factors_13_6_13_wgs_156_tpt_78_sp_ip_CI_unitstride_sbrr_dirReg, .Lfunc_end0-fft_rtc_back_len1014_factors_13_6_13_wgs_156_tpt_78_sp_ip_CI_unitstride_sbrr_dirReg
                                        ; -- End function
	.section	.AMDGPU.csdata,"",@progbits
; Kernel info:
; codeLenInByte = 8528
; NumSgprs: 46
; NumVgprs: 156
; NumAgprs: 0
; TotalNumVgprs: 156
; ScratchSize: 0
; MemoryBound: 0
; FloatMode: 240
; IeeeMode: 1
; LDSByteSize: 0 bytes/workgroup (compile time only)
; SGPRBlocks: 5
; VGPRBlocks: 19
; NumSGPRsForWavesPerEU: 46
; NumVGPRsForWavesPerEU: 156
; AccumOffset: 156
; Occupancy: 3
; WaveLimiterHint : 1
; COMPUTE_PGM_RSRC2:SCRATCH_EN: 0
; COMPUTE_PGM_RSRC2:USER_SGPR: 2
; COMPUTE_PGM_RSRC2:TRAP_HANDLER: 0
; COMPUTE_PGM_RSRC2:TGID_X_EN: 1
; COMPUTE_PGM_RSRC2:TGID_Y_EN: 0
; COMPUTE_PGM_RSRC2:TGID_Z_EN: 0
; COMPUTE_PGM_RSRC2:TIDIG_COMP_CNT: 0
; COMPUTE_PGM_RSRC3_GFX90A:ACCUM_OFFSET: 38
; COMPUTE_PGM_RSRC3_GFX90A:TG_SPLIT: 0
	.text
	.p2alignl 6, 3212836864
	.fill 256, 4, 3212836864
	.type	__hip_cuid_ae505ae4911e6a02,@object ; @__hip_cuid_ae505ae4911e6a02
	.section	.bss,"aw",@nobits
	.globl	__hip_cuid_ae505ae4911e6a02
__hip_cuid_ae505ae4911e6a02:
	.byte	0                               ; 0x0
	.size	__hip_cuid_ae505ae4911e6a02, 1

	.ident	"AMD clang version 19.0.0git (https://github.com/RadeonOpenCompute/llvm-project roc-6.4.0 25133 c7fe45cf4b819c5991fe208aaa96edf142730f1d)"
	.section	".note.GNU-stack","",@progbits
	.addrsig
	.addrsig_sym __hip_cuid_ae505ae4911e6a02
	.amdgpu_metadata
---
amdhsa.kernels:
  - .agpr_count:     0
    .args:
      - .actual_access:  read_only
        .address_space:  global
        .offset:         0
        .size:           8
        .value_kind:     global_buffer
      - .offset:         8
        .size:           8
        .value_kind:     by_value
      - .actual_access:  read_only
        .address_space:  global
        .offset:         16
        .size:           8
        .value_kind:     global_buffer
      - .actual_access:  read_only
        .address_space:  global
        .offset:         24
        .size:           8
        .value_kind:     global_buffer
      - .offset:         32
        .size:           8
        .value_kind:     by_value
      - .actual_access:  read_only
        .address_space:  global
        .offset:         40
        .size:           8
        .value_kind:     global_buffer
      - .actual_access:  read_only
        .address_space:  global
        .offset:         48
        .size:           8
        .value_kind:     global_buffer
      - .offset:         56
        .size:           4
        .value_kind:     by_value
      - .actual_access:  read_only
        .address_space:  global
        .offset:         64
        .size:           8
        .value_kind:     global_buffer
      - .actual_access:  read_only
        .address_space:  global
        .offset:         72
        .size:           8
        .value_kind:     global_buffer
      - .address_space:  global
        .offset:         80
        .size:           8
        .value_kind:     global_buffer
    .group_segment_fixed_size: 0
    .kernarg_segment_align: 8
    .kernarg_segment_size: 88
    .language:       OpenCL C
    .language_version:
      - 2
      - 0
    .max_flat_workgroup_size: 156
    .name:           fft_rtc_back_len1014_factors_13_6_13_wgs_156_tpt_78_sp_ip_CI_unitstride_sbrr_dirReg
    .private_segment_fixed_size: 0
    .sgpr_count:     46
    .sgpr_spill_count: 0
    .symbol:         fft_rtc_back_len1014_factors_13_6_13_wgs_156_tpt_78_sp_ip_CI_unitstride_sbrr_dirReg.kd
    .uniform_work_group_size: 1
    .uses_dynamic_stack: false
    .vgpr_count:     156
    .vgpr_spill_count: 0
    .wavefront_size: 64
amdhsa.target:   amdgcn-amd-amdhsa--gfx950
amdhsa.version:
  - 1
  - 2
...

	.end_amdgpu_metadata
